;; amdgpu-corpus repo=ROCm/rocFFT kind=compiled arch=gfx906 opt=O3
	.text
	.amdgcn_target "amdgcn-amd-amdhsa--gfx906"
	.amdhsa_code_object_version 6
	.protected	fft_rtc_fwd_len289_factors_17_17_wgs_119_tpt_17_sp_op_CI_CI_sbcc_twdbase5_3step ; -- Begin function fft_rtc_fwd_len289_factors_17_17_wgs_119_tpt_17_sp_op_CI_CI_sbcc_twdbase5_3step
	.globl	fft_rtc_fwd_len289_factors_17_17_wgs_119_tpt_17_sp_op_CI_CI_sbcc_twdbase5_3step
	.p2align	8
	.type	fft_rtc_fwd_len289_factors_17_17_wgs_119_tpt_17_sp_op_CI_CI_sbcc_twdbase5_3step,@function
fft_rtc_fwd_len289_factors_17_17_wgs_119_tpt_17_sp_op_CI_CI_sbcc_twdbase5_3step: ; @fft_rtc_fwd_len289_factors_17_17_wgs_119_tpt_17_sp_op_CI_CI_sbcc_twdbase5_3step
; %bb.0:
	s_load_dwordx8 s[8:15], s[4:5], 0x8
	s_load_dwordx2 s[34:35], s[4:5], 0x28
	s_movk_i32 s0, 0x60
	v_cmp_gt_u32_e32 vcc, s0, v0
	s_and_saveexec_b64 s[0:1], vcc
	s_cbranch_execz .LBB0_2
; %bb.1:
	v_lshlrev_b32_e32 v3, 3, v0
	s_waitcnt lgkmcnt(0)
	global_load_dwordx2 v[1:2], v3, s[8:9]
	v_add_u32_e32 v3, 0, v3
	s_waitcnt vmcnt(0)
	ds_write_b64 v3, v[1:2] offset:16184
.LBB0_2:
	s_or_b64 exec, exec, s[0:1]
	s_waitcnt lgkmcnt(0)
	s_load_dwordx2 s[30:31], s[12:13], 0x8
	s_mov_b32 s7, 0
	s_waitcnt lgkmcnt(0)
	s_add_u32 s0, s30, -1
	s_addc_u32 s1, s31, -1
	s_add_u32 s2, 0, 0x92481000
	s_addc_u32 s3, 0, 0x64
	s_mul_hi_u32 s9, s2, -7
	s_add_i32 s3, s3, 0x249248c0
	s_sub_i32 s9, s9, s2
	s_mul_i32 s18, s3, -7
	s_mul_i32 s8, s2, -7
	s_add_i32 s9, s9, s18
	s_mul_hi_u32 s16, s3, s8
	s_mul_i32 s17, s3, s8
	s_mul_i32 s19, s2, s9
	s_mul_hi_u32 s8, s2, s8
	s_mul_hi_u32 s18, s2, s9
	s_add_u32 s8, s8, s19
	s_addc_u32 s18, 0, s18
	s_add_u32 s8, s8, s17
	s_mul_hi_u32 s19, s3, s9
	s_addc_u32 s8, s18, s16
	s_addc_u32 s16, s19, 0
	s_mul_i32 s9, s3, s9
	s_add_u32 s8, s8, s9
	v_mov_b32_e32 v1, s8
	s_addc_u32 s9, 0, s16
	v_add_co_u32_e32 v1, vcc, s2, v1
	s_cmp_lg_u64 vcc, 0
	s_addc_u32 s2, s3, s9
	v_readfirstlane_b32 s9, v1
	s_mul_i32 s8, s0, s2
	s_mul_hi_u32 s16, s0, s9
	s_mul_hi_u32 s3, s0, s2
	s_add_u32 s8, s16, s8
	s_addc_u32 s3, 0, s3
	s_mul_hi_u32 s17, s1, s9
	s_mul_i32 s9, s1, s9
	s_add_u32 s8, s8, s9
	s_mul_hi_u32 s16, s1, s2
	s_addc_u32 s3, s3, s17
	s_addc_u32 s8, s16, 0
	s_mul_i32 s2, s1, s2
	s_add_u32 s2, s3, s2
	s_addc_u32 s3, 0, s8
	s_add_u32 s8, s2, 1
	s_addc_u32 s9, s3, 0
	s_add_u32 s16, s2, 2
	s_mul_i32 s18, s3, 7
	s_mul_hi_u32 s19, s2, 7
	s_addc_u32 s17, s3, 0
	s_add_i32 s19, s19, s18
	s_mul_i32 s18, s2, 7
	v_mov_b32_e32 v1, s18
	v_sub_co_u32_e32 v1, vcc, s0, v1
	s_cmp_lg_u64 vcc, 0
	s_subb_u32 s0, s1, s19
	v_subrev_co_u32_e32 v2, vcc, 7, v1
	s_cmp_lg_u64 vcc, 0
	s_subb_u32 s1, s0, 0
	v_readfirstlane_b32 s18, v2
	s_cmp_gt_u32 s18, 6
	s_cselect_b32 s18, -1, 0
	s_cmp_eq_u32 s1, 0
	s_cselect_b32 s1, s18, -1
	s_cmp_lg_u32 s1, 0
	s_cselect_b32 s1, s16, s8
	s_cselect_b32 s8, s17, s9
	v_readfirstlane_b32 s9, v1
	s_cmp_gt_u32 s9, 6
	s_cselect_b32 s9, -1, 0
	s_cmp_eq_u32 s0, 0
	s_cselect_b32 s0, s9, -1
	s_cmp_lg_u32 s0, 0
	s_cselect_b32 s1, s1, s2
	s_cselect_b32 s0, s8, s3
	s_add_u32 s38, s1, 1
	s_addc_u32 s39, s0, 0
	v_mov_b32_e32 v1, s38
	v_mov_b32_e32 v2, s39
	v_cmp_lt_u64_e32 vcc, s[6:7], v[1:2]
	s_mov_b64 s[8:9], 0
	s_cbranch_vccnz .LBB0_4
; %bb.3:
	v_cvt_f32_u32_e32 v1, s38
	s_sub_i32 s0, 0, s38
	s_mov_b32 s9, s7
	v_rcp_iflag_f32_e32 v1, v1
	v_mul_f32_e32 v1, 0x4f7ffffe, v1
	v_cvt_u32_f32_e32 v1, v1
	v_readfirstlane_b32 s1, v1
	s_mul_i32 s0, s0, s1
	s_mul_hi_u32 s0, s1, s0
	s_add_i32 s1, s1, s0
	s_mul_hi_u32 s0, s6, s1
	s_mul_i32 s2, s0, s38
	s_sub_i32 s2, s6, s2
	s_add_i32 s1, s0, 1
	s_sub_i32 s3, s2, s38
	s_cmp_ge_u32 s2, s38
	s_cselect_b32 s0, s1, s0
	s_cselect_b32 s2, s3, s2
	s_add_i32 s1, s0, 1
	s_cmp_ge_u32 s2, s38
	s_cselect_b32 s8, s1, s0
.LBB0_4:
	s_mul_i32 s0, s8, s39
	s_mul_hi_u32 s1, s8, s38
	s_add_i32 s1, s1, s0
	s_mul_i32 s0, s8, s38
	s_load_dwordx4 s[20:23], s[4:5], 0x60
	s_load_dwordx2 s[28:29], s[4:5], 0x0
	s_load_dwordx4 s[24:27], s[14:15], 0x0
	s_load_dwordx4 s[16:19], s[34:35], 0x0
	s_sub_u32 s33, s6, s0
	s_subb_u32 s0, 0, s1
	s_mul_i32 s0, s0, 7
	s_mul_hi_u32 s50, s33, 7
	s_add_i32 s50, s50, s0
	s_mul_i32 s33, s33, 7
	s_waitcnt lgkmcnt(0)
	s_mul_i32 s0, s26, s50
	s_mul_hi_u32 s1, s26, s33
	s_add_i32 s0, s1, s0
	s_mul_i32 s1, s27, s33
	s_add_i32 s37, s0, s1
	s_mul_i32 s0, s18, s50
	s_mul_hi_u32 s1, s18, s33
	s_add_i32 s0, s1, s0
	s_mul_i32 s1, s19, s33
	s_add_i32 s3, s0, s1
	v_cmp_lt_u64_e64 s[0:1], s[10:11], 3
	s_mul_i32 s36, s26, s33
	s_mul_i32 s2, s18, s33
	s_and_b64 vcc, exec, s[0:1]
	s_cbranch_vccnz .LBB0_14
; %bb.5:
	s_add_u32 s4, s34, 16
	s_addc_u32 s5, s35, 0
	s_add_u32 s40, s14, 16
	s_addc_u32 s41, s15, 0
	s_add_u32 s12, s12, 16
	v_mov_b32_e32 v1, s10
	s_addc_u32 s13, s13, 0
	s_mov_b64 s[42:43], 2
	s_mov_b32 s44, 0
	v_mov_b32_e32 v2, s11
.LBB0_6:                                ; =>This Inner Loop Header: Depth=1
	s_load_dwordx2 s[46:47], s[12:13], 0x0
	s_waitcnt lgkmcnt(0)
	s_or_b64 s[0:1], s[8:9], s[46:47]
	s_mov_b32 s45, s1
	s_cmp_lg_u64 s[44:45], 0
	s_cbranch_scc0 .LBB0_11
; %bb.7:                                ;   in Loop: Header=BB0_6 Depth=1
	v_cvt_f32_u32_e32 v3, s46
	v_cvt_f32_u32_e32 v4, s47
	s_sub_u32 s0, 0, s46
	s_subb_u32 s1, 0, s47
	v_mac_f32_e32 v3, 0x4f800000, v4
	v_rcp_f32_e32 v3, v3
	v_mul_f32_e32 v3, 0x5f7ffffc, v3
	v_mul_f32_e32 v4, 0x2f800000, v3
	v_trunc_f32_e32 v4, v4
	v_mac_f32_e32 v3, 0xcf800000, v4
	v_cvt_u32_f32_e32 v4, v4
	v_cvt_u32_f32_e32 v3, v3
	v_readfirstlane_b32 s45, v4
	v_readfirstlane_b32 s48, v3
	s_mul_i32 s49, s0, s45
	s_mul_hi_u32 s52, s0, s48
	s_mul_i32 s51, s1, s48
	s_add_i32 s49, s52, s49
	s_mul_i32 s53, s0, s48
	s_add_i32 s49, s49, s51
	s_mul_hi_u32 s51, s48, s49
	s_mul_i32 s52, s48, s49
	s_mul_hi_u32 s48, s48, s53
	s_add_u32 s48, s48, s52
	s_addc_u32 s51, 0, s51
	s_mul_hi_u32 s54, s45, s53
	s_mul_i32 s53, s45, s53
	s_add_u32 s48, s48, s53
	s_mul_hi_u32 s52, s45, s49
	s_addc_u32 s48, s51, s54
	s_addc_u32 s51, s52, 0
	s_mul_i32 s49, s45, s49
	s_add_u32 s48, s48, s49
	s_addc_u32 s49, 0, s51
	v_add_co_u32_e32 v3, vcc, s48, v3
	s_cmp_lg_u64 vcc, 0
	s_addc_u32 s45, s45, s49
	v_readfirstlane_b32 s49, v3
	s_mul_i32 s48, s0, s45
	s_mul_hi_u32 s51, s0, s49
	s_add_i32 s48, s51, s48
	s_mul_i32 s1, s1, s49
	s_add_i32 s48, s48, s1
	s_mul_i32 s0, s0, s49
	s_mul_hi_u32 s51, s45, s0
	s_mul_i32 s52, s45, s0
	s_mul_i32 s54, s49, s48
	s_mul_hi_u32 s0, s49, s0
	s_mul_hi_u32 s53, s49, s48
	s_add_u32 s0, s0, s54
	s_addc_u32 s49, 0, s53
	s_add_u32 s0, s0, s52
	s_mul_hi_u32 s1, s45, s48
	s_addc_u32 s0, s49, s51
	s_addc_u32 s1, s1, 0
	s_mul_i32 s48, s45, s48
	s_add_u32 s0, s0, s48
	s_addc_u32 s1, 0, s1
	v_add_co_u32_e32 v3, vcc, s0, v3
	s_cmp_lg_u64 vcc, 0
	s_addc_u32 s0, s45, s1
	v_readfirstlane_b32 s48, v3
	s_mul_i32 s45, s8, s0
	s_mul_hi_u32 s49, s8, s48
	s_mul_hi_u32 s1, s8, s0
	s_add_u32 s45, s49, s45
	s_addc_u32 s1, 0, s1
	s_mul_hi_u32 s51, s9, s48
	s_mul_i32 s48, s9, s48
	s_add_u32 s45, s45, s48
	s_mul_hi_u32 s49, s9, s0
	s_addc_u32 s1, s1, s51
	s_addc_u32 s45, s49, 0
	s_mul_i32 s0, s9, s0
	s_add_u32 s48, s1, s0
	s_addc_u32 s45, 0, s45
	s_mul_i32 s0, s46, s45
	s_mul_hi_u32 s1, s46, s48
	s_add_i32 s0, s1, s0
	s_mul_i32 s1, s47, s48
	s_add_i32 s49, s0, s1
	s_mul_i32 s1, s46, s48
	v_mov_b32_e32 v3, s1
	s_sub_i32 s0, s9, s49
	v_sub_co_u32_e32 v3, vcc, s8, v3
	s_cmp_lg_u64 vcc, 0
	s_subb_u32 s51, s0, s47
	v_subrev_co_u32_e64 v4, s[0:1], s46, v3
	s_cmp_lg_u64 s[0:1], 0
	s_subb_u32 s0, s51, 0
	s_cmp_ge_u32 s0, s47
	v_readfirstlane_b32 s51, v4
	s_cselect_b32 s1, -1, 0
	s_cmp_ge_u32 s51, s46
	s_cselect_b32 s51, -1, 0
	s_cmp_eq_u32 s0, s47
	s_cselect_b32 s0, s51, s1
	s_add_u32 s1, s48, 1
	s_addc_u32 s51, s45, 0
	s_add_u32 s52, s48, 2
	s_addc_u32 s53, s45, 0
	s_cmp_lg_u32 s0, 0
	s_cselect_b32 s0, s52, s1
	s_cselect_b32 s1, s53, s51
	s_cmp_lg_u64 vcc, 0
	s_subb_u32 s49, s9, s49
	s_cmp_ge_u32 s49, s47
	v_readfirstlane_b32 s52, v3
	s_cselect_b32 s51, -1, 0
	s_cmp_ge_u32 s52, s46
	s_cselect_b32 s52, -1, 0
	s_cmp_eq_u32 s49, s47
	s_cselect_b32 s49, s52, s51
	s_cmp_lg_u32 s49, 0
	s_cselect_b32 s1, s1, s45
	s_cselect_b32 s0, s0, s48
	s_cbranch_execnz .LBB0_9
.LBB0_8:                                ;   in Loop: Header=BB0_6 Depth=1
	v_cvt_f32_u32_e32 v3, s46
	s_sub_i32 s0, 0, s46
	v_rcp_iflag_f32_e32 v3, v3
	v_mul_f32_e32 v3, 0x4f7ffffe, v3
	v_cvt_u32_f32_e32 v3, v3
	v_readfirstlane_b32 s1, v3
	s_mul_i32 s0, s0, s1
	s_mul_hi_u32 s0, s1, s0
	s_add_i32 s1, s1, s0
	s_mul_hi_u32 s0, s8, s1
	s_mul_i32 s45, s0, s46
	s_sub_i32 s45, s8, s45
	s_add_i32 s1, s0, 1
	s_sub_i32 s48, s45, s46
	s_cmp_ge_u32 s45, s46
	s_cselect_b32 s0, s1, s0
	s_cselect_b32 s45, s48, s45
	s_add_i32 s1, s0, 1
	s_cmp_ge_u32 s45, s46
	s_cselect_b32 s0, s1, s0
	s_mov_b32 s1, s44
.LBB0_9:                                ;   in Loop: Header=BB0_6 Depth=1
	s_mul_i32 s39, s46, s39
	s_mul_hi_u32 s45, s46, s38
	s_add_i32 s39, s45, s39
	s_mul_i32 s45, s47, s38
	s_add_i32 s39, s39, s45
	s_mul_i32 s45, s0, s47
	s_mul_hi_u32 s47, s0, s46
	s_load_dwordx2 s[48:49], s[40:41], 0x0
	s_add_i32 s45, s47, s45
	s_mul_i32 s47, s1, s46
	s_mul_i32 s38, s46, s38
	s_add_i32 s45, s45, s47
	s_mul_i32 s46, s0, s46
	s_sub_u32 s46, s8, s46
	s_subb_u32 s45, s9, s45
	s_waitcnt lgkmcnt(0)
	s_mul_i32 s8, s48, s45
	s_mul_hi_u32 s9, s48, s46
	s_add_i32 s47, s9, s8
	s_load_dwordx2 s[8:9], s[4:5], 0x0
	s_mul_i32 s49, s49, s46
	s_add_i32 s47, s47, s49
	s_mul_i32 s48, s48, s46
	s_add_u32 s36, s48, s36
	s_addc_u32 s37, s47, s37
	s_waitcnt lgkmcnt(0)
	s_mul_i32 s45, s8, s45
	s_mul_hi_u32 s47, s8, s46
	s_add_i32 s45, s47, s45
	s_mul_i32 s9, s9, s46
	s_add_i32 s45, s45, s9
	s_mul_i32 s8, s8, s46
	s_add_u32 s2, s8, s2
	s_addc_u32 s3, s45, s3
	s_add_u32 s42, s42, 1
	s_addc_u32 s43, s43, 0
	;; [unrolled: 2-line block ×4, first 2 shown]
	v_cmp_ge_u64_e32 vcc, s[42:43], v[1:2]
	s_add_u32 s12, s12, 8
	s_addc_u32 s13, s13, 0
	s_cbranch_vccnz .LBB0_12
; %bb.10:                               ;   in Loop: Header=BB0_6 Depth=1
	s_mov_b64 s[8:9], s[0:1]
	s_branch .LBB0_6
.LBB0_11:                               ;   in Loop: Header=BB0_6 Depth=1
                                        ; implicit-def: $sgpr0_sgpr1
	s_branch .LBB0_8
.LBB0_12:
	v_mov_b32_e32 v1, s38
	v_mov_b32_e32 v2, s39
	v_cmp_lt_u64_e32 vcc, s[6:7], v[1:2]
	s_mov_b64 s[8:9], 0
	s_cbranch_vccnz .LBB0_14
; %bb.13:
	v_cvt_f32_u32_e32 v1, s38
	s_sub_i32 s0, 0, s38
	v_rcp_iflag_f32_e32 v1, v1
	v_mul_f32_e32 v1, 0x4f7ffffe, v1
	v_cvt_u32_f32_e32 v1, v1
	v_readfirstlane_b32 s1, v1
	s_mul_i32 s0, s0, s1
	s_mul_hi_u32 s0, s1, s0
	s_add_i32 s1, s1, s0
	s_mul_hi_u32 s0, s6, s1
	s_mul_i32 s4, s0, s38
	s_sub_i32 s4, s6, s4
	s_add_i32 s1, s0, 1
	s_sub_i32 s5, s4, s38
	s_cmp_ge_u32 s4, s38
	s_cselect_b32 s0, s1, s0
	s_cselect_b32 s4, s5, s4
	s_add_i32 s1, s0, 1
	s_cmp_ge_u32 s4, s38
	s_cselect_b32 s8, s1, s0
.LBB0_14:
	s_lshl_b64 s[10:11], s[10:11], 3
	s_mov_b32 s1, 0x24924925
	s_add_u32 s4, s34, s10
	v_mul_hi_u32 v34, v0, s1
	s_addc_u32 s5, s35, s11
	s_add_u32 s0, s33, 7
	v_mov_b32_e32 v1, s30
	s_addc_u32 s1, s50, 0
	v_mov_b32_e32 v2, s31
	v_cmp_le_u64_e32 vcc, s[0:1], v[1:2]
	v_mul_u32_u24_e32 v1, 7, v34
	v_sub_u32_e32 v38, v0, v1
	v_mov_b32_e32 v2, s50
	v_add_co_u32_e64 v1, s[0:1], s33, v38
	v_addc_co_u32_e64 v2, s[0:1], 0, v2, s[0:1]
	v_cmp_gt_u64_e64 s[0:1], s[30:31], v[1:2]
	v_mov_b32_e32 v16, 0
	s_or_b64 s[0:1], vcc, s[0:1]
	v_lshlrev_b32_e32 v39, 3, v34
	v_add_u32_e32 v37, 17, v34
	v_add_u32_e32 v36, 34, v34
	v_add_u32_e32 v35, 51, v34
	s_and_saveexec_b64 s[6:7], s[0:1]
	s_cbranch_execz .LBB0_16
; %bb.15:
	s_add_u32 s10, s14, s10
	s_addc_u32 s11, s15, s11
	s_load_dwordx2 s[10:11], s[10:11], 0x0
	v_mad_u64_u32 v[1:2], s[12:13], s26, v38, 0
	v_mad_u64_u32 v[3:4], s[12:13], s24, v34, 0
	s_waitcnt lgkmcnt(0)
	s_mul_i32 s9, s11, s8
	s_mul_hi_u32 s11, s10, s8
	s_add_i32 s11, s11, s9
	s_mul_i32 s10, s10, s8
	v_mad_u64_u32 v[5:6], s[12:13], s27, v38, v[2:3]
	v_mov_b32_e32 v2, v4
	s_lshl_b64 s[10:11], s[10:11], 3
	v_mad_u64_u32 v[6:7], s[12:13], s25, v34, v[2:3]
	s_add_u32 s9, s20, s10
	s_addc_u32 s12, s21, s11
	s_lshl_b64 s[10:11], s[36:37], 3
	s_add_u32 s9, s9, s10
	s_addc_u32 s10, s12, s11
	v_mov_b32_e32 v2, v5
	v_mov_b32_e32 v4, v6
	v_mov_b32_e32 v7, s10
	v_mad_u64_u32 v[5:6], s[10:11], s24, v37, 0
	v_lshlrev_b64 v[1:2], 3, v[1:2]
	v_mad_u64_u32 v[9:10], s[10:11], s24, v35, 0
	v_add_co_u32_e32 v15, vcc, s9, v1
	v_addc_co_u32_e32 v33, vcc, v7, v2, vcc
	v_lshlrev_b64 v[1:2], 3, v[3:4]
	v_mov_b32_e32 v3, v6
	v_mad_u64_u32 v[3:4], s[10:11], s25, v37, v[3:4]
	v_mad_u64_u32 v[7:8], s[10:11], s24, v36, 0
	v_mov_b32_e32 v6, v3
	v_lshlrev_b64 v[3:4], 3, v[5:6]
	v_mov_b32_e32 v5, v8
	v_mad_u64_u32 v[5:6], s[10:11], s25, v36, v[5:6]
	v_add_u32_e32 v11, 0x44, v34
	v_add_co_u32_e32 v1, vcc, v15, v1
	v_mov_b32_e32 v8, v5
	v_lshlrev_b64 v[5:6], 3, v[7:8]
	v_mov_b32_e32 v7, v10
	v_mad_u64_u32 v[7:8], s[10:11], s25, v35, v[7:8]
	v_addc_co_u32_e32 v2, vcc, v33, v2, vcc
	v_mov_b32_e32 v10, v7
	v_lshlrev_b64 v[7:8], 3, v[9:10]
	v_mad_u64_u32 v[9:10], s[10:11], s24, v11, 0
	v_add_co_u32_e32 v3, vcc, v15, v3
	v_mad_u64_u32 v[10:11], s[10:11], s25, v11, v[10:11]
	v_add_u32_e32 v23, 0x55, v34
	v_addc_co_u32_e32 v4, vcc, v33, v4, vcc
	v_mad_u64_u32 v[11:12], s[10:11], s24, v23, 0
	v_add_co_u32_e32 v5, vcc, v15, v5
	v_addc_co_u32_e32 v6, vcc, v33, v6, vcc
	v_add_co_u32_e32 v7, vcc, v15, v7
	v_addc_co_u32_e32 v8, vcc, v33, v8, vcc
	global_load_dwordx2 v[13:14], v[1:2], off
	global_load_dwordx2 v[17:18], v[3:4], off
	;; [unrolled: 1-line block ×4, first 2 shown]
	v_mov_b32_e32 v3, v12
	v_mad_u64_u32 v[3:4], s[10:11], s25, v23, v[3:4]
	v_add_u32_e32 v8, 0x66, v34
	v_mad_u64_u32 v[4:5], s[10:11], s24, v8, 0
	v_mov_b32_e32 v12, v3
	v_lshlrev_b64 v[1:2], 3, v[9:10]
	v_mov_b32_e32 v3, v5
	v_lshlrev_b64 v[6:7], 3, v[11:12]
	v_mad_u64_u32 v[8:9], s[10:11], s25, v8, v[3:4]
	v_add_u32_e32 v11, 0x77, v34
	v_mad_u64_u32 v[9:10], s[10:11], s24, v11, 0
	v_add_co_u32_e32 v1, vcc, v15, v1
	v_addc_co_u32_e32 v2, vcc, v33, v2, vcc
	v_mov_b32_e32 v5, v8
	v_add_co_u32_e32 v6, vcc, v15, v6
	v_lshlrev_b64 v[3:4], 3, v[4:5]
	v_mov_b32_e32 v5, v10
	v_mad_u64_u32 v[10:11], s[10:11], s25, v11, v[5:6]
	v_add_u32_e32 v12, 0x88, v34
	v_addc_co_u32_e32 v7, vcc, v33, v7, vcc
	v_lshlrev_b64 v[8:9], 3, v[9:10]
	v_mad_u64_u32 v[10:11], s[10:11], s24, v12, 0
	v_add_co_u32_e32 v3, vcc, v15, v3
	v_mov_b32_e32 v5, v11
	v_mad_u64_u32 v[11:12], s[10:11], s25, v12, v[5:6]
	v_add_u32_e32 v5, 0x99, v34
	v_mad_u64_u32 v[23:24], s[10:11], s24, v5, 0
	v_addc_co_u32_e32 v4, vcc, v33, v4, vcc
	v_add_co_u32_e32 v8, vcc, v15, v8
	v_addc_co_u32_e32 v9, vcc, v33, v9, vcc
	global_load_dwordx2 v[25:26], v[1:2], off
	global_load_dwordx2 v[27:28], v[6:7], off
	;; [unrolled: 1-line block ×4, first 2 shown]
	v_mov_b32_e32 v3, v24
	v_mad_u64_u32 v[3:4], s[10:11], s25, v5, v[3:4]
	v_add_u32_e32 v8, 0xaa, v34
	v_mad_u64_u32 v[4:5], s[10:11], s24, v8, 0
	v_mov_b32_e32 v24, v3
	v_lshlrev_b64 v[1:2], 3, v[10:11]
	v_mov_b32_e32 v3, v5
	v_mad_u64_u32 v[8:9], s[10:11], s25, v8, v[3:4]
	v_add_u32_e32 v11, 0xbb, v34
	v_mad_u64_u32 v[9:10], s[10:11], s24, v11, 0
	v_add_co_u32_e32 v1, vcc, v15, v1
	v_lshlrev_b64 v[6:7], 3, v[23:24]
	v_addc_co_u32_e32 v2, vcc, v33, v2, vcc
	v_mov_b32_e32 v5, v8
	v_add_co_u32_e32 v6, vcc, v15, v6
	v_lshlrev_b64 v[3:4], 3, v[4:5]
	v_mov_b32_e32 v5, v10
	v_mad_u64_u32 v[10:11], s[10:11], s25, v11, v[5:6]
	v_add_u32_e32 v23, 0xcc, v34
	v_mad_u64_u32 v[11:12], s[10:11], s24, v23, 0
	v_lshlrev_b64 v[8:9], 3, v[9:10]
	v_addc_co_u32_e32 v7, vcc, v33, v7, vcc
	v_mov_b32_e32 v5, v12
	v_mad_u64_u32 v[23:24], s[10:11], s25, v23, v[5:6]
	v_add_u32_e32 v24, 0xdd, v34
	v_mad_u64_u32 v[40:41], s[10:11], s24, v24, 0
	v_mov_b32_e32 v12, v23
	v_lshlrev_b64 v[10:11], 3, v[11:12]
	v_mov_b32_e32 v5, v41
	v_add_u32_e32 v12, 0xee, v34
	v_mad_u64_u32 v[23:24], s[10:11], s25, v24, v[5:6]
	v_mad_u64_u32 v[42:43], s[10:11], s24, v12, 0
	v_mov_b32_e32 v41, v23
	v_lshlrev_b64 v[23:24], 3, v[40:41]
	v_mov_b32_e32 v5, v43
	v_mad_u64_u32 v[40:41], s[10:11], s25, v12, v[5:6]
	v_add_u32_e32 v12, 0xff, v34
	v_mad_u64_u32 v[44:45], s[10:11], s24, v12, 0
	v_add_co_u32_e32 v3, vcc, v15, v3
	v_mov_b32_e32 v43, v40
	v_mov_b32_e32 v5, v45
	v_addc_co_u32_e32 v4, vcc, v33, v4, vcc
	v_lshlrev_b64 v[40:41], 3, v[42:43]
	v_mad_u64_u32 v[42:43], s[10:11], s25, v12, v[5:6]
	v_add_u32_e32 v12, 0x110, v34
	v_add_co_u32_e32 v8, vcc, v15, v8
	v_mad_u64_u32 v[46:47], s[10:11], s24, v12, 0
	v_addc_co_u32_e32 v9, vcc, v33, v9, vcc
	v_add_co_u32_e32 v10, vcc, v15, v10
	v_addc_co_u32_e32 v11, vcc, v33, v11, vcc
	v_add_co_u32_e32 v23, vcc, v15, v23
	v_mov_b32_e32 v45, v42
	v_mov_b32_e32 v5, v47
	v_addc_co_u32_e32 v24, vcc, v33, v24, vcc
	v_lshlrev_b64 v[42:43], 3, v[44:45]
	v_mad_u64_u32 v[44:45], s[10:11], s25, v12, v[5:6]
	v_add_co_u32_e32 v40, vcc, v15, v40
	v_addc_co_u32_e32 v41, vcc, v33, v41, vcc
	v_add_co_u32_e32 v42, vcc, v15, v42
	v_addc_co_u32_e32 v43, vcc, v33, v43, vcc
	v_mov_b32_e32 v47, v44
	global_load_dwordx2 v[44:45], v[1:2], off
	global_load_dwordx2 v[48:49], v[6:7], off
	;; [unrolled: 1-line block ×8, first 2 shown]
	v_lshlrev_b64 v[1:2], 3, v[46:47]
	s_movk_i32 s9, 0x908
	v_add_co_u32_e32 v1, vcc, v15, v1
	v_addc_co_u32_e32 v2, vcc, v33, v2, vcc
	global_load_dwordx2 v[1:2], v[1:2], off
	v_mul_lo_u32 v3, v38, s9
	v_add3_u32 v3, 0, v3, v39
	s_waitcnt vmcnt(15)
	ds_write2_b64 v3, v[13:14], v[17:18] offset1:17
	s_waitcnt vmcnt(13)
	ds_write2_b64 v3, v[19:20], v[21:22] offset0:34 offset1:51
	s_waitcnt vmcnt(11)
	ds_write2_b64 v3, v[25:26], v[27:28] offset0:68 offset1:85
	;; [unrolled: 2-line block ×7, first 2 shown]
	s_waitcnt vmcnt(0)
	ds_write_b64 v3, v[1:2] offset:2176
.LBB0_16:
	s_or_b64 exec, exec, s[6:7]
	s_mov_b32 s6, 0xf0f0f10
	v_mul_hi_u32 v5, v0, s6
	s_add_u32 s6, 0, 0x92481000
	s_addc_u32 s7, 0, 0x64
	s_add_i32 s7, s7, 0x249248c0
	s_mul_hi_u32 s12, s6, -7
	s_sub_i32 s12, s12, s6
	s_mul_i32 s13, s7, -7
	s_mul_i32 s9, s6, -7
	s_add_i32 s12, s12, s13
	s_mul_hi_u32 s10, s7, s9
	s_mul_i32 s11, s7, s9
	s_mul_i32 s14, s6, s12
	s_mul_hi_u32 s9, s6, s9
	s_mul_hi_u32 s13, s6, s12
	s_add_u32 s9, s9, s14
	s_addc_u32 s13, 0, s13
	s_add_u32 s9, s9, s11
	s_mul_hi_u32 s14, s7, s12
	s_addc_u32 s9, s13, s10
	s_addc_u32 s10, s14, 0
	s_mul_i32 s11, s7, s12
	s_add_u32 s9, s9, s11
	v_mov_b32_e32 v2, s9
	s_addc_u32 s10, 0, s10
	v_add_co_u32_e32 v3, vcc, s6, v2
	s_cmp_lg_u64 vcc, 0
	v_mov_b32_e32 v1, s50
	s_addc_u32 s9, s7, s10
	v_add_co_u32_e32 v21, vcc, s33, v5
	v_addc_co_u32_e32 v6, vcc, 0, v1, vcc
	v_mad_u64_u32 v[1:2], s[6:7], v21, s9, 0
	v_mul_hi_u32 v4, v21, v3
	s_load_dwordx2 s[4:5], s[4:5], 0x0
	s_waitcnt lgkmcnt(0)
	s_barrier
	v_add_co_u32_e32 v7, vcc, v4, v1
	v_addc_co_u32_e32 v8, vcc, 0, v2, vcc
	v_mad_u64_u32 v[1:2], s[6:7], v6, v3, 0
	v_mad_u64_u32 v[3:4], s[6:7], v6, s9, 0
	v_add_co_u32_e32 v1, vcc, v7, v1
	v_addc_co_u32_e32 v1, vcc, v8, v2, vcc
	v_addc_co_u32_e32 v2, vcc, 0, v4, vcc
	v_add_co_u32_e32 v1, vcc, v1, v3
	v_addc_co_u32_e32 v3, vcc, 0, v2, vcc
	v_mad_u64_u32 v[1:2], s[6:7], v1, 7, 0
	s_mov_b32 s9, 0x3f6eb680
	v_mad_u64_u32 v[2:3], s[6:7], v3, 7, v[2:3]
	v_sub_co_u32_e32 v1, vcc, v21, v1
	v_subb_co_u32_e32 v2, vcc, v6, v2, vcc
	v_subrev_co_u32_e32 v3, vcc, 7, v1
	v_subbrev_co_u32_e32 v4, vcc, 0, v2, vcc
	v_cmp_lt_u32_e32 vcc, 6, v3
	v_cndmask_b32_e64 v6, 0, -1, vcc
	v_cmp_eq_u32_e32 vcc, 0, v4
	v_cndmask_b32_e32 v4, -1, v6, vcc
	v_add_u32_e32 v6, -7, v3
	v_cmp_ne_u32_e32 vcc, 0, v4
	v_cndmask_b32_e32 v3, v3, v6, vcc
	v_cmp_lt_u32_e32 vcc, 6, v1
	v_cndmask_b32_e64 v4, 0, -1, vcc
	v_cmp_eq_u32_e32 vcc, 0, v2
	v_cndmask_b32_e32 v2, -1, v4, vcc
	v_cmp_ne_u32_e32 vcc, 0, v2
	v_cndmask_b32_e32 v1, v1, v3, vcc
	v_mul_u32_u24_e32 v1, 0x121, v1
	v_mul_u32_u24_e32 v2, 17, v5
	v_sub_u32_e32 v22, v0, v2
	v_lshlrev_b32_e32 v0, 3, v1
	v_add_u32_e32 v24, 0, v0
	v_lshlrev_b32_e32 v1, 3, v22
	v_add_u32_e32 v23, v24, v1
	ds_read_b64 v[19:20], v23
	v_add3_u32 v40, 0, v1, v0
	v_add_u32_e32 v17, 0x400, v40
	ds_read2_b64 v[25:28], v40 offset0:17 offset1:34
	ds_read2_b64 v[54:57], v40 offset0:51 offset1:68
	;; [unrolled: 1-line block ×8, first 2 shown]
	s_waitcnt lgkmcnt(7)
	v_add_f32_e32 v17, v19, v25
	v_add_f32_e32 v18, v20, v26
	v_add_f32_e32 v17, v17, v27
	v_add_f32_e32 v18, v18, v28
	s_waitcnt lgkmcnt(6)
	v_add_f32_e32 v17, v17, v54
	v_add_f32_e32 v18, v18, v55
	v_add_f32_e32 v17, v17, v56
	v_add_f32_e32 v18, v18, v57
	;; [unrolled: 5-line block ×7, first 2 shown]
	s_waitcnt lgkmcnt(0)
	v_add_f32_e32 v17, v17, v29
	v_add_f32_e32 v18, v18, v30
	v_sub_f32_e32 v59, v26, v32
	v_add_f32_e32 v17, v17, v31
	v_add_f32_e32 v18, v18, v32
	;; [unrolled: 1-line block ×4, first 2 shown]
	v_sub_f32_e32 v48, v25, v31
	v_mul_f32_e32 v46, 0xbeb8f4ab, v59
	v_mul_f32_e32 v53, 0xbf2c7751, v59
	s_mov_b32 s7, 0x3f3d2fb0
	v_add_f32_e32 v26, v29, v27
	v_add_f32_e32 v25, v30, v28
	v_sub_f32_e32 v29, v27, v29
	v_sub_f32_e32 v32, v28, v30
	v_add_f32_e32 v28, v43, v54
	v_add_f32_e32 v27, v44, v55
	v_sub_f32_e32 v33, v54, v43
	v_sub_f32_e32 v43, v55, v44
	v_add_f32_e32 v31, v41, v56
	v_sub_f32_e32 v44, v56, v41
	v_add_f32_e32 v41, v15, v9
	;; [unrolled: 2-line block ×3, first 2 shown]
	v_sub_f32_e32 v54, v11, v13
	v_mul_f32_e32 v11, 0xbf65296c, v59
	s_mov_b32 s11, 0x3ee437d1
	v_mul_f32_e32 v13, 0xbf7ee86f, v59
	s_mov_b32 s6, 0x3dbcf732
	;; [unrolled: 2-line block ×3, first 2 shown]
	s_mov_b32 s12, 0xbf1a4643
	v_mul_f32_e32 v56, 0xbf4c4adb, v59
	s_mov_b32 s13, 0xbf59a7d5
	v_mul_f32_e32 v60, 0xbf06c442, v59
	v_mul_f32_e32 v59, 0xbe3c28d5, v59
	s_mov_b32 s14, 0xbf7ba420
	v_fma_f32 v49, v58, s9, -v46
	v_fmac_f32_e32 v46, 0x3f6eb680, v58
	v_add_f32_e32 v30, v42, v57
	v_sub_f32_e32 v47, v57, v42
	v_add_f32_e32 v42, v14, v8
	v_sub_f32_e32 v8, v8, v14
	;; [unrolled: 2-line block ×3, first 2 shown]
	v_fma_f32 v10, v58, s7, -v53
	v_fmac_f32_e32 v53, 0x3f3d2fb0, v58
	v_fma_f32 v12, v58, s11, -v11
	v_fmac_f32_e32 v11, 0x3ee437d1, v58
	;; [unrolled: 2-line block ×7, first 2 shown]
	v_mul_f32_e32 v58, 0xbeb8f4ab, v48
	v_mul_f32_e32 v64, 0xbf2c7751, v48
	;; [unrolled: 1-line block ×8, first 2 shown]
	v_mov_b32_e32 v63, v58
	v_mov_b32_e32 v65, v64
	v_mov_b32_e32 v67, v66
	v_mov_b32_e32 v69, v68
	v_mov_b32_e32 v71, v70
	v_mov_b32_e32 v73, v72
	v_mov_b32_e32 v75, v74
	v_mov_b32_e32 v76, v48
	v_fmac_f32_e32 v63, 0x3f6eb680, v45
	v_fma_f32 v58, v45, s9, -v58
	v_fmac_f32_e32 v65, 0x3f3d2fb0, v45
	v_fma_f32 v64, v45, s7, -v64
	;; [unrolled: 2-line block ×8, first 2 shown]
	v_add_f32_e32 v48, v19, v49
	v_add_f32_e32 v49, v20, v63
	;; [unrolled: 1-line block ×17, first 2 shown]
	v_mul_f32_e32 v45, 0xbf2c7751, v32
	v_add_f32_e32 v46, v19, v46
	v_add_f32_e32 v10, v19, v10
	;; [unrolled: 1-line block ×15, first 2 shown]
	v_fma_f32 v59, v26, s7, -v45
	v_add_f32_e32 v48, v59, v48
	v_mul_f32_e32 v59, 0xbf2c7751, v29
	v_fmac_f32_e32 v45, 0x3f3d2fb0, v26
	v_add_f32_e32 v45, v45, v46
	v_fma_f32 v46, v25, s7, -v59
	v_add_f32_e32 v46, v46, v58
	v_mul_f32_e32 v58, 0xbf7ee86f, v32
	v_mov_b32_e32 v76, v59
	v_fma_f32 v59, v26, s6, -v58
	v_fmac_f32_e32 v76, 0x3f3d2fb0, v25
	v_add_f32_e32 v10, v59, v10
	v_mul_f32_e32 v59, 0xbf7ee86f, v29
	v_fmac_f32_e32 v58, 0x3dbcf732, v26
	v_add_f32_e32 v49, v76, v49
	v_mov_b32_e32 v76, v59
	v_add_f32_e32 v53, v58, v53
	v_fma_f32 v58, v25, s6, -v59
	v_mul_f32_e32 v59, 0xbf4c4adb, v32
	v_add_f32_e32 v58, v58, v64
	v_fma_f32 v64, v26, s12, -v59
	v_fmac_f32_e32 v76, 0x3dbcf732, v25
	v_add_f32_e32 v12, v64, v12
	v_mul_f32_e32 v64, 0xbf4c4adb, v29
	v_fmac_f32_e32 v59, 0xbf1a4643, v26
	v_add_f32_e32 v63, v76, v63
	v_mov_b32_e32 v76, v64
	v_add_f32_e32 v11, v59, v11
	v_fma_f32 v59, v25, s12, -v64
	v_mul_f32_e32 v64, 0xbe3c28d5, v32
	v_add_f32_e32 v59, v59, v66
	;; [unrolled: 11-line block ×5, first 2 shown]
	v_fma_f32 v72, v26, s11, -v70
	v_fmac_f32_e32 v76, 0xbe8c1d8e, v25
	v_add_f32_e32 v61, v72, v61
	v_mul_f32_e32 v72, 0x3f65296c, v29
	v_fmac_f32_e32 v70, 0x3ee437d1, v26
	v_mul_f32_e32 v32, 0x3eb8f4ab, v32
	v_add_f32_e32 v71, v76, v71
	v_mov_b32_e32 v76, v72
	v_add_f32_e32 v60, v70, v60
	v_fma_f32 v70, v25, s11, -v72
	v_fma_f32 v72, v26, s9, -v32
	v_mul_f32_e32 v29, 0x3eb8f4ab, v29
	v_add_f32_e32 v62, v72, v62
	v_mov_b32_e32 v72, v29
	v_fmac_f32_e32 v76, 0x3ee437d1, v25
	v_fmac_f32_e32 v72, 0x3f6eb680, v25
	v_fma_f32 v25, v25, s9, -v29
	v_fmac_f32_e32 v32, 0x3f6eb680, v26
	v_add_f32_e32 v20, v25, v20
	v_mul_f32_e32 v25, 0xbf65296c, v43
	v_mul_f32_e32 v29, 0xbf65296c, v33
	v_add_f32_e32 v19, v32, v19
	v_fma_f32 v26, v28, s11, -v25
	v_mov_b32_e32 v32, v29
	v_fmac_f32_e32 v25, 0x3ee437d1, v28
	v_fmac_f32_e32 v32, 0x3ee437d1, v27
	v_add_f32_e32 v25, v25, v45
	v_fma_f32 v29, v27, s11, -v29
	v_mul_f32_e32 v45, 0xbf4c4adb, v43
	v_add_f32_e32 v32, v32, v49
	v_add_f32_e32 v29, v29, v46
	v_fma_f32 v46, v28, s12, -v45
	v_fmac_f32_e32 v45, 0xbf1a4643, v28
	v_mul_f32_e32 v49, 0x3e3c28d5, v43
	v_add_f32_e32 v10, v46, v10
	v_mul_f32_e32 v46, 0xbf4c4adb, v33
	v_add_f32_e32 v45, v45, v53
	v_fma_f32 v53, v28, s14, -v49
	v_add_f32_e32 v26, v26, v48
	v_mov_b32_e32 v48, v46
	v_fma_f32 v46, v27, s12, -v46
	v_add_f32_e32 v12, v53, v12
	v_mul_f32_e32 v53, 0x3e3c28d5, v33
	v_fmac_f32_e32 v49, 0xbf7ba420, v28
	v_add_f32_e32 v46, v46, v58
	v_mov_b32_e32 v58, v53
	v_add_f32_e32 v11, v49, v11
	v_fma_f32 v49, v27, s14, -v53
	v_mul_f32_e32 v53, 0x3f763a35, v43
	v_add_f32_e32 v49, v49, v59
	v_fma_f32 v59, v28, s10, -v53
	v_fmac_f32_e32 v48, 0xbf1a4643, v27
	v_add_f32_e32 v14, v59, v14
	v_mul_f32_e32 v59, 0x3f763a35, v33
	v_fmac_f32_e32 v53, 0xbe8c1d8e, v28
	v_add_f32_e32 v48, v48, v63
	v_mov_b32_e32 v63, v59
	v_add_f32_e32 v13, v53, v13
	v_fma_f32 v53, v27, s10, -v59
	v_mul_f32_e32 v59, 0x3f2c7751, v43
	v_add_f32_e32 v53, v53, v64
	v_fma_f32 v64, v28, s7, -v59
	v_fmac_f32_e32 v58, 0xbf7ba420, v27
	;; [unrolled: 11-line block ×4, first 2 shown]
	v_add_f32_e32 v61, v68, v61
	v_mul_f32_e32 v68, 0xbf7ee86f, v33
	v_fmac_f32_e32 v66, 0x3dbcf732, v28
	v_mul_f32_e32 v43, 0xbf06c442, v43
	v_add_f32_e32 v65, v65, v69
	v_mov_b32_e32 v69, v68
	v_add_f32_e32 v60, v66, v60
	v_fma_f32 v66, v27, s6, -v68
	v_fma_f32 v68, v28, s13, -v43
	v_mul_f32_e32 v33, 0xbf06c442, v33
	v_add_f32_e32 v62, v68, v62
	v_mov_b32_e32 v68, v33
	v_fmac_f32_e32 v67, 0x3f6eb680, v27
	v_fmac_f32_e32 v69, 0x3dbcf732, v27
	v_fmac_f32_e32 v68, 0xbf59a7d5, v27
	v_fma_f32 v27, v27, s13, -v33
	v_add_f32_e32 v20, v27, v20
	v_mul_f32_e32 v27, 0xbf7ee86f, v47
	v_fmac_f32_e32 v43, 0xbf59a7d5, v28
	v_fma_f32 v28, v31, s6, -v27
	v_add_f32_e32 v26, v28, v26
	v_mul_f32_e32 v28, 0xbf7ee86f, v44
	v_fmac_f32_e32 v27, 0x3dbcf732, v31
	v_mov_b32_e32 v33, v28
	v_add_f32_e32 v25, v27, v25
	v_fma_f32 v27, v30, s6, -v28
	v_mul_f32_e32 v28, 0xbe3c28d5, v47
	v_add_f32_e32 v19, v43, v19
	v_add_f32_e32 v27, v27, v29
	v_fma_f32 v29, v31, s14, -v28
	v_fmac_f32_e32 v28, 0xbf7ba420, v31
	v_mul_f32_e32 v43, 0x3f763a35, v47
	v_fmac_f32_e32 v33, 0x3dbcf732, v30
	v_add_f32_e32 v10, v29, v10
	v_mul_f32_e32 v29, 0xbe3c28d5, v44
	v_add_f32_e32 v28, v28, v45
	v_fma_f32 v45, v31, s10, -v43
	v_add_f32_e32 v32, v33, v32
	v_mov_b32_e32 v33, v29
	v_fma_f32 v29, v30, s14, -v29
	v_add_f32_e32 v12, v45, v12
	v_mul_f32_e32 v45, 0x3f763a35, v44
	v_fmac_f32_e32 v43, 0xbe8c1d8e, v31
	v_fmac_f32_e32 v33, 0xbf7ba420, v30
	v_add_f32_e32 v29, v29, v46
	v_mov_b32_e32 v46, v45
	v_add_f32_e32 v11, v43, v11
	v_fma_f32 v43, v30, s10, -v45
	v_mul_f32_e32 v45, 0x3eb8f4ab, v47
	v_add_f32_e32 v33, v33, v48
	v_fma_f32 v48, v31, s9, -v45
	v_add_f32_e32 v14, v48, v14
	v_mul_f32_e32 v48, 0x3eb8f4ab, v44
	v_fmac_f32_e32 v45, 0x3f6eb680, v31
	v_add_f32_e32 v43, v43, v49
	v_mov_b32_e32 v49, v48
	v_add_f32_e32 v13, v45, v13
	v_fma_f32 v45, v30, s9, -v48
	v_mul_f32_e32 v48, 0xbf65296c, v47
	v_add_f32_e32 v45, v45, v53
	v_fma_f32 v53, v31, s11, -v48
	v_fmac_f32_e32 v46, 0xbe8c1d8e, v30
	v_add_f32_e32 v53, v53, v55
	v_mul_f32_e32 v55, 0xbf65296c, v44
	v_fmac_f32_e32 v48, 0x3ee437d1, v31
	v_add_f32_e32 v46, v46, v58
	v_mov_b32_e32 v58, v55
	v_add_f32_e32 v15, v48, v15
	v_fma_f32 v48, v30, s11, -v55
	v_mul_f32_e32 v55, 0xbf06c442, v47
	v_add_f32_e32 v48, v48, v59
	v_fma_f32 v59, v31, s13, -v55
	v_fmac_f32_e32 v49, 0x3f6eb680, v30
	;; [unrolled: 11-line block ×3, first 2 shown]
	v_add_f32_e32 v61, v64, v61
	v_mul_f32_e32 v64, 0x3f4c4adb, v44
	v_fmac_f32_e32 v59, 0xbf1a4643, v31
	v_mul_f32_e32 v47, 0x3f2c7751, v47
	v_add_f32_e32 v58, v58, v65
	v_mov_b32_e32 v65, v64
	v_add_f32_e32 v59, v59, v60
	v_fma_f32 v60, v30, s12, -v64
	v_fma_f32 v64, v31, s7, -v47
	v_mul_f32_e32 v44, 0x3f2c7751, v44
	v_add_f32_e32 v62, v64, v62
	v_mov_b32_e32 v64, v44
	v_fmac_f32_e32 v63, 0xbf59a7d5, v30
	v_fmac_f32_e32 v65, 0xbf1a4643, v30
	;; [unrolled: 1-line block ×3, first 2 shown]
	v_fma_f32 v30, v30, s7, -v44
	v_add_f32_e32 v20, v30, v20
	v_mul_f32_e32 v30, 0xbf763a35, v9
	v_fmac_f32_e32 v47, 0x3f3d2fb0, v31
	v_fma_f32 v31, v42, s10, -v30
	v_add_f32_e32 v26, v31, v26
	v_mul_f32_e32 v31, 0xbf763a35, v8
	v_fmac_f32_e32 v30, 0xbe8c1d8e, v42
	v_add_f32_e32 v25, v30, v25
	v_fma_f32 v30, v41, s10, -v31
	v_add_f32_e32 v27, v30, v27
	v_mul_f32_e32 v30, 0x3f06c442, v9
	v_mov_b32_e32 v44, v31
	v_fma_f32 v31, v42, s13, -v30
	v_fmac_f32_e32 v44, 0xbe8c1d8e, v41
	v_add_f32_e32 v31, v31, v10
	v_mul_f32_e32 v10, 0x3f06c442, v8
	v_add_f32_e32 v32, v44, v32
	v_mov_b32_e32 v44, v10
	v_fma_f32 v10, v41, s13, -v10
	v_fmac_f32_e32 v30, 0xbf59a7d5, v42
	v_add_f32_e32 v29, v10, v29
	v_mul_f32_e32 v10, 0x3f2c7751, v9
	v_add_f32_e32 v28, v30, v28
	v_fma_f32 v30, v42, s7, -v10
	v_fmac_f32_e32 v44, 0xbf59a7d5, v41
	v_add_f32_e32 v30, v30, v12
	v_mul_f32_e32 v12, 0x3f2c7751, v8
	v_add_f32_e32 v33, v44, v33
	v_mov_b32_e32 v44, v12
	v_fmac_f32_e32 v44, 0x3f3d2fb0, v41
	v_fmac_f32_e32 v10, 0x3f3d2fb0, v42
	v_add_f32_e32 v44, v44, v46
	v_add_f32_e32 v46, v10, v11
	v_fma_f32 v10, v41, s7, -v12
	v_add_f32_e32 v43, v10, v43
	v_mul_f32_e32 v10, 0xbf65296c, v9
	v_add_f32_e32 v70, v70, v74
	v_fma_f32 v11, v42, s11, -v10
	v_add_f32_e32 v66, v66, v70
	v_add_f32_e32 v19, v47, v19
	;; [unrolled: 1-line block ×3, first 2 shown]
	v_mul_f32_e32 v11, 0xbf65296c, v8
	v_fmac_f32_e32 v10, 0x3ee437d1, v42
	v_add_f32_e32 v60, v60, v66
	v_add_f32_e32 v66, v10, v13
	v_fma_f32 v10, v41, s11, -v11
	v_add_f32_e32 v45, v10, v45
	v_mul_f32_e32 v10, 0xbe3c28d5, v9
	v_add_f32_e32 v72, v72, v75
	v_add_f32_e32 v67, v67, v71
	v_mov_b32_e32 v12, v11
	v_fma_f32 v11, v42, s14, -v10
	v_add_f32_e32 v68, v68, v72
	v_add_f32_e32 v63, v63, v67
	;; [unrolled: 1-line block ×3, first 2 shown]
	v_mul_f32_e32 v11, 0xbe3c28d5, v8
	v_fmac_f32_e32 v10, 0xbf7ba420, v42
	v_add_f32_e32 v64, v64, v68
	v_add_f32_e32 v68, v10, v15
	v_fma_f32 v10, v41, s14, -v11
	v_fmac_f32_e32 v12, 0x3ee437d1, v41
	v_add_f32_e32 v48, v10, v48
	v_mul_f32_e32 v10, 0x3f7ee86f, v9
	v_add_f32_e32 v49, v12, v49
	v_mov_b32_e32 v12, v11
	v_fma_f32 v11, v42, s6, -v10
	v_add_f32_e32 v57, v11, v57
	v_mul_f32_e32 v11, 0x3f7ee86f, v8
	v_fmac_f32_e32 v10, 0x3dbcf732, v42
	v_add_f32_e32 v55, v10, v55
	v_fma_f32 v10, v41, s6, -v11
	v_fmac_f32_e32 v12, 0xbf7ba420, v41
	v_add_f32_e32 v56, v10, v56
	v_mul_f32_e32 v10, 0xbeb8f4ab, v9
	v_add_f32_e32 v58, v12, v58
	v_mov_b32_e32 v12, v11
	v_fma_f32 v11, v42, s9, -v10
	v_add_f32_e32 v61, v11, v61
	v_mul_f32_e32 v11, 0xbeb8f4ab, v8
	v_fmac_f32_e32 v10, 0x3f6eb680, v42
	v_add_f32_e32 v73, v76, v73
	v_add_f32_e32 v59, v10, v59
	v_fma_f32 v10, v41, s9, -v11
	v_mul_f32_e32 v9, 0xbf4c4adb, v9
	v_add_f32_e32 v69, v69, v73
	v_fmac_f32_e32 v12, 0x3dbcf732, v41
	v_add_f32_e32 v60, v10, v60
	v_fma_f32 v10, v42, s12, -v9
	v_mul_f32_e32 v8, 0xbf4c4adb, v8
	v_fmac_f32_e32 v9, 0xbf1a4643, v42
	v_add_f32_e32 v65, v65, v69
	v_add_f32_e32 v63, v12, v63
	v_mov_b32_e32 v12, v11
	v_add_f32_e32 v62, v10, v62
	v_mov_b32_e32 v10, v8
	v_add_f32_e32 v69, v9, v19
	v_fma_f32 v8, v41, s12, -v8
	v_mul_f32_e32 v9, 0xbf4c4adb, v54
	v_fmac_f32_e32 v12, 0x3f6eb680, v41
	v_fmac_f32_e32 v10, 0xbf1a4643, v41
	v_add_f32_e32 v70, v8, v20
	v_fma_f32 v8, v51, s12, -v9
	v_fmac_f32_e32 v9, 0xbf1a4643, v51
	v_mul_f32_e32 v13, 0x3f763a35, v54
	v_mul_f32_e32 v14, 0x3f763a35, v50
	v_add_f32_e32 v65, v12, v65
	v_add_f32_e32 v64, v10, v64
	v_mul_f32_e32 v10, 0xbf4c4adb, v50
	v_add_f32_e32 v9, v9, v25
	v_fma_f32 v11, v51, s10, -v13
	v_mov_b32_e32 v12, v14
	v_fmac_f32_e32 v13, 0xbe8c1d8e, v51
	v_fma_f32 v14, v52, s10, -v14
	v_mul_f32_e32 v25, 0xbeb8f4ab, v50
	v_add_f32_e32 v53, v8, v26
	v_mov_b32_e32 v8, v10
	v_fma_f32 v10, v52, s12, -v10
	v_fmac_f32_e32 v12, 0xbe8c1d8e, v52
	v_add_f32_e32 v13, v13, v28
	v_add_f32_e32 v14, v14, v29
	v_mov_b32_e32 v19, v25
	v_fma_f32 v25, v52, s9, -v25
	v_mul_f32_e32 v28, 0xbf06c442, v54
	v_mul_f32_e32 v29, 0xbf06c442, v50
	v_fmac_f32_e32 v8, 0xbf1a4643, v52
	v_add_f32_e32 v10, v10, v27
	v_add_f32_e32 v12, v12, v33
	;; [unrolled: 1-line block ×3, first 2 shown]
	v_fma_f32 v26, v51, s13, -v28
	v_mov_b32_e32 v27, v29
	v_mul_f32_e32 v33, 0x3f7ee86f, v50
	v_mul_f32_e32 v43, 0xbf2c7751, v54
	v_add_f32_e32 v8, v8, v32
	v_add_f32_e32 v11, v11, v31
	v_mul_f32_e32 v20, 0xbeb8f4ab, v54
	v_fmac_f32_e32 v19, 0x3f6eb680, v52
	v_add_f32_e32 v26, v26, v47
	v_fmac_f32_e32 v27, 0xbf59a7d5, v52
	v_mul_f32_e32 v32, 0x3f7ee86f, v54
	v_mov_b32_e32 v31, v33
	v_fma_f32 v33, v52, s6, -v33
	v_fma_f32 v41, v51, s7, -v43
	v_fmac_f32_e32 v43, 0x3f3d2fb0, v51
	v_mul_f32_e32 v47, 0xbe3c28d5, v54
	v_mul_f32_e32 v54, 0x3f65296c, v54
	v_fma_f32 v15, v51, s9, -v20
	v_add_f32_e32 v19, v19, v44
	v_fmac_f32_e32 v20, 0x3f6eb680, v51
	v_add_f32_e32 v27, v27, v49
	v_fma_f32 v29, v52, s13, -v29
	v_add_f32_e32 v33, v33, v48
	v_mul_f32_e32 v44, 0xbf2c7751, v50
	v_add_f32_e32 v43, v43, v55
	v_mul_f32_e32 v48, 0xbe3c28d5, v50
	v_fma_f32 v49, v51, s11, -v54
	v_mul_f32_e32 v55, 0x3f65296c, v50
	v_fmac_f32_e32 v54, 0x3ee437d1, v51
	v_add_f32_e32 v15, v15, v30
	v_add_f32_e32 v20, v20, v46
	v_fmac_f32_e32 v28, 0xbf59a7d5, v51
	v_add_f32_e32 v29, v29, v45
	v_fma_f32 v30, v51, s6, -v32
	v_fmac_f32_e32 v32, 0x3dbcf732, v51
	v_mov_b32_e32 v42, v44
	v_fma_f32 v45, v51, s14, -v47
	v_mov_b32_e32 v46, v48
	v_fmac_f32_e32 v47, 0xbf7ba420, v51
	v_mov_b32_e32 v50, v55
	v_add_f32_e32 v51, v54, v69
	v_add_f32_e32 v54, v6, v0
	v_sub_f32_e32 v0, v0, v6
	v_fmac_f32_e32 v31, 0x3dbcf732, v52
	v_fmac_f32_e32 v42, 0x3f3d2fb0, v52
	v_fma_f32 v44, v52, s7, -v44
	v_fmac_f32_e32 v46, 0xbf7ba420, v52
	v_fma_f32 v48, v52, s14, -v48
	;; [unrolled: 2-line block ×3, first 2 shown]
	v_sub_f32_e32 v55, v1, v7
	v_mul_f32_e32 v6, 0xbf06c442, v0
	v_add_f32_e32 v44, v44, v56
	v_mul_f32_e32 v56, 0xbf06c442, v55
	v_add_f32_e32 v1, v7, v1
	v_mov_b32_e32 v7, v6
	v_add_f32_e32 v41, v41, v57
	v_fma_f32 v57, v54, s13, -v56
	v_fmac_f32_e32 v7, 0xbf59a7d5, v1
	v_fmac_f32_e32 v56, 0xbf59a7d5, v54
	v_add_f32_e32 v7, v7, v8
	v_add_f32_e32 v8, v56, v9
	v_fma_f32 v6, v1, s13, -v6
	v_mul_f32_e32 v9, 0x3f65296c, v55
	v_add_f32_e32 v6, v6, v10
	v_fma_f32 v10, v54, s11, -v9
	v_add_f32_e32 v10, v10, v11
	v_mul_f32_e32 v11, 0x3f65296c, v0
	v_fmac_f32_e32 v9, 0x3ee437d1, v54
	v_mov_b32_e32 v56, v11
	v_add_f32_e32 v9, v9, v13
	v_fma_f32 v11, v1, s11, -v11
	v_mul_f32_e32 v13, 0xbf7ee86f, v55
	v_add_f32_e32 v11, v11, v14
	v_fma_f32 v14, v54, s6, -v13
	v_fmac_f32_e32 v56, 0x3ee437d1, v1
	v_add_f32_e32 v14, v14, v15
	v_mul_f32_e32 v15, 0xbf7ee86f, v0
	v_fmac_f32_e32 v13, 0x3dbcf732, v54
	v_add_f32_e32 v12, v56, v12
	v_mov_b32_e32 v56, v15
	v_add_f32_e32 v13, v13, v20
	v_fma_f32 v15, v1, s6, -v15
	v_mul_f32_e32 v20, 0x3f4c4adb, v55
	v_fmac_f32_e32 v56, 0x3dbcf732, v1
	v_add_f32_e32 v15, v15, v25
	v_fma_f32 v25, v54, s12, -v20
	v_add_f32_e32 v19, v56, v19
	v_add_f32_e32 v56, v25, v26
	v_mul_f32_e32 v25, 0x3f4c4adb, v0
	v_mov_b32_e32 v26, v25
	v_fma_f32 v25, v1, s12, -v25
	v_add_f32_e32 v31, v31, v58
	v_fmac_f32_e32 v26, 0xbf1a4643, v1
	v_add_f32_e32 v58, v25, v29
	v_mul_f32_e32 v25, 0xbeb8f4ab, v55
	v_add_f32_e32 v30, v30, v67
	v_add_f32_e32 v53, v57, v53
	;; [unrolled: 1-line block ×3, first 2 shown]
	v_fma_f32 v26, v54, s9, -v25
	v_add_f32_e32 v32, v32, v68
	v_add_f32_e32 v47, v47, v59
	;; [unrolled: 1-line block ×3, first 2 shown]
	v_mul_f32_e32 v26, 0xbeb8f4ab, v0
	v_fmac_f32_e32 v25, 0x3f6eb680, v54
	v_add_f32_e32 v45, v45, v61
	v_add_f32_e32 v61, v25, v32
	v_fma_f32 v25, v1, s9, -v26
	v_add_f32_e32 v33, v25, v33
	v_mul_f32_e32 v25, 0xbe3c28d5, v55
	v_mov_b32_e32 v27, v26
	v_fma_f32 v26, v54, s14, -v25
	v_add_f32_e32 v49, v49, v62
	v_add_f32_e32 v62, v26, v41
	v_mul_f32_e32 v26, 0xbe3c28d5, v0
	v_fmac_f32_e32 v25, 0xbf7ba420, v54
	v_add_f32_e32 v50, v50, v64
	v_add_f32_e32 v64, v25, v43
	v_fma_f32 v25, v1, s14, -v26
	v_add_f32_e32 v46, v46, v65
	v_fmac_f32_e32 v27, 0x3f6eb680, v1
	v_add_f32_e32 v65, v25, v44
	v_mul_f32_e32 v25, 0x3f2c7751, v55
	v_add_f32_e32 v48, v48, v60
	v_add_f32_e32 v60, v27, v31
	v_mov_b32_e32 v27, v26
	v_fma_f32 v26, v54, s7, -v25
	v_add_f32_e32 v45, v26, v45
	v_mul_f32_e32 v26, 0x3f2c7751, v0
	v_fmac_f32_e32 v25, 0x3f3d2fb0, v54
	v_add_f32_e32 v47, v25, v47
	v_fma_f32 v25, v1, s7, -v26
	v_add_f32_e32 v42, v42, v63
	v_fmac_f32_e32 v27, 0xbf7ba420, v1
	v_add_f32_e32 v48, v25, v48
	v_mul_f32_e32 v25, 0xbf763a35, v55
	v_add_f32_e32 v63, v27, v42
	v_mov_b32_e32 v27, v26
	v_fma_f32 v26, v54, s10, -v25
	v_mul_f32_e32 v0, 0xbf763a35, v0
	v_add_f32_e32 v52, v52, v70
	v_add_f32_e32 v49, v26, v49
	v_mov_b32_e32 v26, v0
	v_fma_f32 v0, v1, s10, -v0
	v_sub_f32_e32 v67, v3, v5
	v_fmac_f32_e32 v20, 0xbf1a4643, v54
	v_fmac_f32_e32 v25, 0xbe8c1d8e, v54
	v_add_f32_e32 v52, v0, v52
	v_add_f32_e32 v54, v4, v2
	v_mul_f32_e32 v0, 0xbe3c28d5, v67
	v_add_f32_e32 v28, v28, v66
	v_fmac_f32_e32 v27, 0x3f3d2fb0, v1
	v_fmac_f32_e32 v26, 0xbe8c1d8e, v1
	v_sub_f32_e32 v66, v2, v4
	v_fma_f32 v1, v54, s14, -v0
	v_add_f32_e32 v51, v25, v51
	v_add_f32_e32 v25, v1, v53
	v_mul_f32_e32 v1, 0xbe3c28d5, v66
	v_add_f32_e32 v55, v5, v3
	v_mov_b32_e32 v2, v1
	v_fmac_f32_e32 v2, 0xbf7ba420, v55
	v_add_f32_e32 v50, v26, v50
	v_add_f32_e32 v26, v2, v7
	v_mul_f32_e32 v2, 0x3eb8f4ab, v67
	v_fma_f32 v3, v54, s9, -v2
	v_add_f32_e32 v46, v27, v46
	v_add_f32_e32 v27, v3, v10
	v_mul_f32_e32 v3, 0x3eb8f4ab, v66
	v_mov_b32_e32 v4, v3
	v_fmac_f32_e32 v4, 0x3f6eb680, v55
	v_add_f32_e32 v20, v20, v28
	v_add_f32_e32 v28, v4, v12
	v_mul_f32_e32 v4, 0xbf06c442, v67
	v_fma_f32 v5, v54, s13, -v4
	v_fma_f32 v1, v55, s14, -v1
	v_add_f32_e32 v29, v5, v14
	v_mul_f32_e32 v5, 0xbf06c442, v66
	v_add_f32_e32 v1, v1, v6
	v_mov_b32_e32 v6, v5
	v_fmac_f32_e32 v6, 0xbf59a7d5, v55
	v_add_f32_e32 v30, v6, v19
	v_mul_f32_e32 v6, 0x3f2c7751, v67
	v_fma_f32 v7, v54, s7, -v6
	v_fmac_f32_e32 v0, 0xbf7ba420, v54
	v_add_f32_e32 v31, v7, v56
	v_mul_f32_e32 v7, 0x3f2c7751, v66
	v_add_f32_e32 v0, v0, v8
	v_mov_b32_e32 v8, v7
	v_fmac_f32_e32 v8, 0x3f3d2fb0, v55
	v_fmac_f32_e32 v2, 0x3f6eb680, v54
	v_add_f32_e32 v32, v8, v57
	v_mul_f32_e32 v8, 0xbf4c4adb, v67
	v_add_f32_e32 v2, v2, v9
	v_fma_f32 v9, v54, s12, -v8
	v_add_f32_e32 v41, v9, v59
	v_mul_f32_e32 v9, 0xbf4c4adb, v66
	v_mov_b32_e32 v10, v9
	v_fmac_f32_e32 v10, 0xbf1a4643, v55
	v_fma_f32 v3, v55, s9, -v3
	v_add_f32_e32 v42, v10, v60
	v_mul_f32_e32 v10, 0x3f65296c, v67
	v_add_f32_e32 v3, v3, v11
	v_fma_f32 v11, v54, s11, -v10
	v_add_f32_e32 v43, v11, v62
	v_mul_f32_e32 v11, 0x3f65296c, v66
	v_mov_b32_e32 v12, v11
	v_fmac_f32_e32 v12, 0x3ee437d1, v55
	v_fmac_f32_e32 v4, 0xbf59a7d5, v54
	v_add_f32_e32 v44, v12, v63
	v_mul_f32_e32 v12, 0xbf763a35, v67
	v_add_f32_e32 v4, v4, v13
	v_fmac_f32_e32 v6, 0x3f3d2fb0, v54
	v_fma_f32 v13, v54, s10, -v12
	v_fma_f32 v5, v55, s13, -v5
	v_add_f32_e32 v6, v6, v20
	v_add_f32_e32 v45, v13, v45
	v_mul_f32_e32 v13, 0xbf763a35, v66
	v_mul_f32_e32 v20, 0x3f7ee86f, v66
	v_add_f32_e32 v5, v5, v15
	v_mov_b32_e32 v14, v13
	v_mov_b32_e32 v15, v20
	v_fmac_f32_e32 v14, 0xbe8c1d8e, v55
	v_mul_f32_e32 v19, 0x3f7ee86f, v67
	v_fmac_f32_e32 v15, 0x3dbcf732, v55
	s_movk_i32 s15, 0x88
	v_fma_f32 v7, v55, s7, -v7
	v_fmac_f32_e32 v8, 0xbf1a4643, v54
	v_fma_f32 v9, v55, s12, -v9
	v_fmac_f32_e32 v10, 0x3ee437d1, v54
	v_fma_f32 v11, v55, s11, -v11
	v_add_f32_e32 v46, v14, v46
	v_fmac_f32_e32 v12, 0xbe8c1d8e, v54
	v_fma_f32 v13, v55, s10, -v13
	v_fma_f32 v14, v54, s6, -v19
	v_add_f32_e32 v15, v15, v50
	v_fmac_f32_e32 v19, 0x3dbcf732, v54
	v_fma_f32 v20, v55, s6, -v20
	v_mad_i32_i24 v24, v22, s15, v24
	v_add_f32_e32 v7, v7, v58
	v_add_f32_e32 v8, v8, v61
	;; [unrolled: 1-line block ×10, first 2 shown]
	s_barrier
	ds_write2_b64 v24, v[17:18], v[25:26] offset1:1
	ds_write2_b64 v24, v[27:28], v[29:30] offset0:2 offset1:3
	ds_write2_b64 v24, v[31:32], v[41:42] offset0:4 offset1:5
	;; [unrolled: 1-line block ×7, first 2 shown]
	ds_write_b64 v24, v[0:1] offset:128
	v_lshlrev_b32_e32 v15, 4, v22
	v_lshlrev_b64 v[0:1], 3, v[15:16]
	v_mov_b32_e32 v2, s29
	v_add_co_u32_e32 v8, vcc, s28, v0
	v_addc_co_u32_e32 v9, vcc, v2, v1, vcc
	s_waitcnt lgkmcnt(0)
	s_barrier
	global_load_dwordx4 v[0:3], v[8:9], off
	global_load_dwordx4 v[4:7], v[8:9], off offset:16
	global_load_dwordx4 v[10:13], v[8:9], off offset:32
	;; [unrolled: 1-line block ×7, first 2 shown]
	ds_read2_b64 v[49:52], v40 offset0:17 offset1:34
	ds_read2_b64 v[53:56], v40 offset0:68 offset1:85
	v_mul_lo_u32 v22, v22, v21
	s_waitcnt vmcnt(7) lgkmcnt(1)
	v_mul_f32_e32 v8, v1, v50
	v_fma_f32 v20, v0, v49, -v8
	ds_read2_b32 v[8:9], v40 offset0:102 offset1:103
	v_mul_f32_e32 v61, v1, v49
	v_fmac_f32_e32 v61, v0, v50
	v_mul_f32_e32 v0, v3, v52
	v_mul_f32_e32 v63, v3, v51
	v_fma_f32 v62, v2, v51, -v0
	v_fmac_f32_e32 v63, v2, v52
	ds_read2_b64 v[0:3], v40 offset0:102 offset1:119
	ds_read2_b64 v[49:52], v40 offset0:136 offset1:153
	ds_read_b64 v[32:33], v40 offset:2176
	s_waitcnt vmcnt(6) lgkmcnt(3)
	v_mul_f32_e32 v14, v9, v5
	v_mul_f32_e32 v65, v5, v8
	v_fma_f32 v64, v4, v8, -v14
	v_fmac_f32_e32 v65, v9, v4
	v_mul_f32_e32 v4, v54, v7
	v_fma_f32 v66, v53, v6, -v4
	v_mul_f32_e32 v67, v53, v7
	s_waitcnt vmcnt(5)
	v_mul_f32_e32 v4, v56, v11
	v_mul_f32_e32 v14, v55, v11
	v_fmac_f32_e32 v67, v54, v6
	v_fma_f32 v15, v55, v10, -v4
	v_fmac_f32_e32 v14, v56, v10
	ds_read2_b64 v[53:56], v40 offset0:170 offset1:187
	s_waitcnt lgkmcnt(3)
	v_mul_f32_e32 v4, v1, v13
	v_fma_f32 v10, v0, v12, -v4
	v_mul_f32_e32 v11, v0, v13
	s_waitcnt vmcnt(4)
	v_mul_f32_e32 v0, v3, v17
	v_fma_f32 v6, v2, v16, -v0
	v_mul_f32_e32 v7, v2, v17
	ds_read2_b64 v[57:60], v40 offset0:204 offset1:221
	s_waitcnt lgkmcnt(3)
	v_mul_f32_e32 v0, v50, v19
	v_fmac_f32_e32 v7, v3, v16
	v_fma_f32 v2, v49, v18, -v0
	v_mul_f32_e32 v3, v49, v19
	s_waitcnt vmcnt(3)
	v_mul_f32_e32 v0, v52, v25
	v_mul_f32_e32 v5, v51, v25
	v_fmac_f32_e32 v3, v50, v18
	v_fma_f32 v4, v51, v24, -v0
	v_fmac_f32_e32 v5, v52, v24
	ds_read2_b64 v[49:52], v40 offset0:238 offset1:255
	s_waitcnt lgkmcnt(2)
	v_mul_f32_e32 v0, v54, v27
	v_fma_f32 v8, v53, v26, -v0
	s_waitcnt vmcnt(2)
	v_mul_f32_e32 v0, v56, v29
	v_fmac_f32_e32 v11, v1, v12
	v_fma_f32 v12, v55, v28, -v0
	s_waitcnt lgkmcnt(1)
	v_mul_f32_e32 v0, v58, v31
	v_fma_f32 v17, v57, v30, -v0
	s_waitcnt vmcnt(1)
	v_mul_f32_e32 v0, v60, v42
	v_fma_f32 v18, v59, v41, -v0
	s_waitcnt lgkmcnt(0)
	v_mul_f32_e32 v0, v50, v44
	v_mul_f32_e32 v9, v53, v27
	;; [unrolled: 1-line block ×3, first 2 shown]
	v_fma_f32 v24, v49, v43, -v0
	s_waitcnt vmcnt(0)
	v_mul_f32_e32 v0, v52, v46
	v_mul_f32_e32 v29, v32, v48
	v_fmac_f32_e32 v9, v54, v26
	v_fma_f32 v26, v51, v45, -v0
	v_mul_f32_e32 v0, v33, v48
	v_fmac_f32_e32 v29, v33, v47
	v_fmac_f32_e32 v13, v56, v28
	v_mul_f32_e32 v16, v57, v31
	v_mul_f32_e32 v19, v59, v42
	;; [unrolled: 1-line block ×4, first 2 shown]
	v_fma_f32 v28, v32, v47, -v0
	v_sub_f32_e32 v1, v61, v29
	v_fmac_f32_e32 v16, v58, v30
	v_fmac_f32_e32 v19, v60, v41
	;; [unrolled: 1-line block ×4, first 2 shown]
	v_add_f32_e32 v0, v20, v28
	v_mul_f32_e32 v30, 0xbeb8f4ab, v1
	v_mul_f32_e32 v32, 0xbf2c7751, v1
	;; [unrolled: 1-line block ×8, first 2 shown]
	v_sub_f32_e32 v54, v20, v28
	v_fma_f32 v31, v0, s9, -v30
	v_fmac_f32_e32 v30, 0x3f6eb680, v0
	v_fma_f32 v33, v0, s7, -v32
	v_fmac_f32_e32 v32, 0x3f3d2fb0, v0
	;; [unrolled: 2-line block ×8, first 2 shown]
	v_add_f32_e32 v53, v61, v29
	v_mul_f32_e32 v0, 0xbeb8f4ab, v54
	v_mov_b32_e32 v55, v0
	v_fma_f32 v56, v53, s9, -v0
	v_mul_f32_e32 v0, 0xbf2c7751, v54
	v_mov_b32_e32 v57, v0
	v_fma_f32 v58, v53, s7, -v0
	;; [unrolled: 3-line block ×7, first 2 shown]
	ds_read_b64 v[0:1], v23
	v_mul_f32_e32 v23, 0xbe3c28d5, v54
	v_mov_b32_e32 v54, v23
	v_fmac_f32_e32 v55, 0x3f6eb680, v53
	v_fmac_f32_e32 v57, 0x3f3d2fb0, v53
	s_waitcnt lgkmcnt(0)
	v_add_f32_e32 v20, v20, v0
	v_fmac_f32_e32 v59, 0x3ee437d1, v53
	v_fmac_f32_e32 v68, 0x3dbcf732, v53
	;; [unrolled: 1-line block ×6, first 2 shown]
	v_fma_f32 v23, v53, s14, -v23
	v_add_f32_e32 v53, v61, v1
	v_add_f32_e32 v31, v31, v0
	;; [unrolled: 1-line block ×63, first 2 shown]
	v_sub_f32_e32 v27, v63, v27
	v_add_f32_e32 v1, v1, v29
	v_add_f32_e32 v20, v62, v26
	v_mul_f32_e32 v29, 0xbf2c7751, v27
	v_sub_f32_e32 v26, v62, v26
	v_fma_f32 v53, v20, s7, -v29
	v_add_f32_e32 v31, v53, v31
	v_mul_f32_e32 v53, 0xbf2c7751, v26
	v_fmac_f32_e32 v29, 0x3f3d2fb0, v20
	v_mov_b32_e32 v62, v53
	v_add_f32_e32 v29, v29, v30
	v_fma_f32 v30, v28, s7, -v53
	v_mul_f32_e32 v53, 0xbf7ee86f, v27
	v_add_f32_e32 v30, v30, v56
	v_fma_f32 v56, v20, s6, -v53
	v_fmac_f32_e32 v62, 0x3f3d2fb0, v28
	v_add_f32_e32 v33, v56, v33
	v_mul_f32_e32 v56, 0xbf7ee86f, v26
	v_fmac_f32_e32 v53, 0x3dbcf732, v20
	v_add_f32_e32 v55, v62, v55
	v_mov_b32_e32 v62, v56
	v_add_f32_e32 v32, v53, v32
	v_fma_f32 v53, v28, s6, -v56
	v_mul_f32_e32 v56, 0xbf4c4adb, v27
	v_add_f32_e32 v53, v53, v58
	v_fma_f32 v58, v20, s12, -v56
	v_fmac_f32_e32 v62, 0x3dbcf732, v28
	v_add_f32_e32 v42, v58, v42
	v_mul_f32_e32 v58, 0xbf4c4adb, v26
	v_fmac_f32_e32 v56, 0xbf1a4643, v20
	v_add_f32_e32 v57, v62, v57
	v_mov_b32_e32 v62, v58
	v_add_f32_e32 v41, v56, v41
	v_fma_f32 v56, v28, s12, -v58
	v_mul_f32_e32 v58, 0xbe3c28d5, v27
	v_add_f32_e32 v56, v56, v60
	v_fma_f32 v60, v20, s14, -v58
	v_fmac_f32_e32 v62, 0xbf1a4643, v28
	v_add_f32_e32 v44, v60, v44
	v_mul_f32_e32 v60, 0xbe3c28d5, v26
	v_add_f32_e32 v59, v62, v59
	v_mov_b32_e32 v62, v60
	v_fmac_f32_e32 v58, 0xbf7ba420, v20
	v_fmac_f32_e32 v62, 0xbf7ba420, v28
	v_add_f32_e32 v43, v58, v43
	v_fma_f32 v58, v28, s14, -v60
	v_mul_f32_e32 v60, 0x3f06c442, v27
	v_add_f32_e32 v61, v62, v61
	v_fma_f32 v62, v20, s13, -v60
	v_add_f32_e32 v46, v62, v46
	v_mul_f32_e32 v62, 0x3f06c442, v26
	v_fmac_f32_e32 v60, 0xbf59a7d5, v20
	v_mov_b32_e32 v63, v62
	v_add_f32_e32 v45, v60, v45
	v_fma_f32 v60, v28, s13, -v62
	v_mul_f32_e32 v62, 0x3f763a35, v27
	v_add_f32_e32 v58, v58, v68
	v_fma_f32 v68, v20, s10, -v62
	v_fmac_f32_e32 v63, 0xbf59a7d5, v28
	v_add_f32_e32 v48, v68, v48
	v_mul_f32_e32 v68, 0x3f763a35, v26
	v_fmac_f32_e32 v62, 0xbe8c1d8e, v20
	v_add_f32_e32 v63, v63, v69
	v_mov_b32_e32 v69, v68
	v_add_f32_e32 v47, v62, v47
	v_fma_f32 v62, v28, s10, -v68
	v_mul_f32_e32 v68, 0x3f65296c, v27
	v_add_f32_e32 v60, v60, v70
	v_fma_f32 v70, v20, s11, -v68
	v_fmac_f32_e32 v69, 0xbe8c1d8e, v28
	v_add_f32_e32 v50, v70, v50
	v_mul_f32_e32 v70, 0x3f65296c, v26
	v_fmac_f32_e32 v68, 0x3ee437d1, v20
	v_mul_f32_e32 v27, 0x3eb8f4ab, v27
	v_add_f32_e32 v69, v69, v71
	v_mov_b32_e32 v71, v70
	v_add_f32_e32 v49, v68, v49
	v_fma_f32 v68, v28, s11, -v70
	v_fma_f32 v70, v20, s9, -v27
	v_mul_f32_e32 v26, 0x3eb8f4ab, v26
	v_fmac_f32_e32 v27, 0x3f6eb680, v20
	v_add_f32_e32 v52, v70, v52
	v_mov_b32_e32 v70, v26
	v_add_f32_e32 v20, v27, v51
	v_fma_f32 v26, v28, s9, -v26
	v_add_f32_e32 v27, v65, v25
	v_sub_f32_e32 v25, v65, v25
	v_fmac_f32_e32 v71, 0x3ee437d1, v28
	v_fmac_f32_e32 v70, 0x3f6eb680, v28
	v_add_f32_e32 v23, v26, v23
	v_add_f32_e32 v26, v64, v24
	v_mul_f32_e32 v28, 0xbf65296c, v25
	v_sub_f32_e32 v24, v64, v24
	v_fma_f32 v51, v26, s11, -v28
	v_add_f32_e32 v31, v51, v31
	v_mul_f32_e32 v51, 0xbf65296c, v24
	v_fmac_f32_e32 v28, 0x3ee437d1, v26
	v_add_f32_e32 v28, v28, v29
	v_fma_f32 v29, v27, s11, -v51
	v_add_f32_e32 v29, v29, v30
	v_mul_f32_e32 v30, 0xbf4c4adb, v25
	v_mov_b32_e32 v64, v51
	v_fma_f32 v51, v26, s12, -v30
	v_fmac_f32_e32 v64, 0x3ee437d1, v27
	v_add_f32_e32 v33, v51, v33
	v_mul_f32_e32 v51, 0xbf4c4adb, v24
	v_fmac_f32_e32 v30, 0xbf1a4643, v26
	v_add_f32_e32 v55, v64, v55
	v_mov_b32_e32 v64, v51
	v_add_f32_e32 v30, v30, v32
	v_fma_f32 v32, v27, s12, -v51
	v_mul_f32_e32 v51, 0x3e3c28d5, v25
	v_add_f32_e32 v32, v32, v53
	v_fma_f32 v53, v26, s14, -v51
	v_fmac_f32_e32 v64, 0xbf1a4643, v27
	v_add_f32_e32 v42, v53, v42
	v_mul_f32_e32 v53, 0x3e3c28d5, v24
	v_fmac_f32_e32 v51, 0xbf7ba420, v26
	v_add_f32_e32 v57, v64, v57
	v_mov_b32_e32 v64, v53
	v_add_f32_e32 v41, v51, v41
	v_fma_f32 v51, v27, s14, -v53
	v_mul_f32_e32 v53, 0x3f763a35, v25
	v_add_f32_e32 v51, v51, v56
	;; [unrolled: 11-line block ×4, first 2 shown]
	v_fma_f32 v60, v26, s9, -v58
	v_fmac_f32_e32 v64, 0x3f3d2fb0, v27
	v_add_f32_e32 v48, v60, v48
	v_mul_f32_e32 v60, 0xbeb8f4ab, v24
	v_fmac_f32_e32 v58, 0x3f6eb680, v26
	v_add_f32_e32 v62, v62, v72
	v_add_f32_e32 v63, v64, v63
	v_mov_b32_e32 v64, v60
	v_add_f32_e32 v47, v58, v47
	v_fma_f32 v58, v27, s9, -v60
	v_mul_f32_e32 v60, 0xbf7ee86f, v25
	v_add_f32_e32 v58, v58, v62
	v_fma_f32 v62, v26, s6, -v60
	v_add_f32_e32 v50, v62, v50
	v_mul_f32_e32 v62, 0xbf7ee86f, v24
	v_fmac_f32_e32 v60, 0x3dbcf732, v26
	v_mul_f32_e32 v25, 0xbf06c442, v25
	v_mov_b32_e32 v65, v62
	v_add_f32_e32 v49, v60, v49
	v_fma_f32 v60, v27, s6, -v62
	v_fma_f32 v62, v26, s13, -v25
	v_mul_f32_e32 v24, 0xbf06c442, v24
	v_fmac_f32_e32 v25, 0xbf59a7d5, v26
	v_add_f32_e32 v52, v62, v52
	v_mov_b32_e32 v62, v24
	v_add_f32_e32 v20, v25, v20
	v_fma_f32 v24, v27, s13, -v24
	v_add_f32_e32 v25, v67, v19
	v_sub_f32_e32 v19, v67, v19
	v_add_f32_e32 v23, v24, v23
	v_add_f32_e32 v24, v66, v18
	v_mul_f32_e32 v26, 0xbf7ee86f, v19
	v_fmac_f32_e32 v64, 0x3f6eb680, v27
	v_fmac_f32_e32 v65, 0x3dbcf732, v27
	;; [unrolled: 1-line block ×3, first 2 shown]
	v_sub_f32_e32 v18, v66, v18
	v_fma_f32 v27, v24, s6, -v26
	v_add_f32_e32 v27, v27, v31
	v_mul_f32_e32 v31, 0xbf7ee86f, v18
	v_fmac_f32_e32 v26, 0x3dbcf732, v24
	v_add_f32_e32 v26, v26, v28
	v_fma_f32 v28, v25, s6, -v31
	v_add_f32_e32 v54, v70, v54
	v_add_f32_e32 v28, v28, v29
	v_mul_f32_e32 v29, 0xbe3c28d5, v19
	v_add_f32_e32 v54, v62, v54
	v_mov_b32_e32 v62, v31
	v_fma_f32 v31, v24, s14, -v29
	v_add_f32_e32 v31, v31, v33
	v_mul_f32_e32 v33, 0xbe3c28d5, v18
	v_fmac_f32_e32 v29, 0xbf7ba420, v24
	v_add_f32_e32 v29, v29, v30
	v_fma_f32 v30, v25, s14, -v33
	v_fmac_f32_e32 v62, 0x3dbcf732, v25
	v_add_f32_e32 v30, v30, v32
	v_mul_f32_e32 v32, 0x3f763a35, v19
	v_add_f32_e32 v55, v62, v55
	v_mov_b32_e32 v62, v33
	v_fma_f32 v33, v24, s10, -v32
	v_fmac_f32_e32 v62, 0xbf7ba420, v25
	v_add_f32_e32 v33, v33, v42
	v_mul_f32_e32 v42, 0x3f763a35, v18
	v_fmac_f32_e32 v32, 0xbe8c1d8e, v24
	v_add_f32_e32 v57, v62, v57
	v_mov_b32_e32 v62, v42
	v_add_f32_e32 v32, v32, v41
	v_fma_f32 v41, v25, s10, -v42
	v_mul_f32_e32 v42, 0x3eb8f4ab, v19
	v_add_f32_e32 v41, v41, v51
	v_fma_f32 v51, v24, s9, -v42
	v_fmac_f32_e32 v62, 0xbe8c1d8e, v25
	v_add_f32_e32 v44, v51, v44
	v_mul_f32_e32 v51, 0x3eb8f4ab, v18
	v_fmac_f32_e32 v42, 0x3f6eb680, v24
	v_add_f32_e32 v59, v62, v59
	v_mov_b32_e32 v62, v51
	v_add_f32_e32 v42, v42, v43
	v_fma_f32 v43, v25, s9, -v51
	v_mul_f32_e32 v51, 0xbf65296c, v19
	v_add_f32_e32 v43, v43, v53
	;; [unrolled: 11-line block ×4, first 2 shown]
	v_fma_f32 v58, v24, s12, -v56
	v_add_f32_e32 v64, v64, v69
	v_fmac_f32_e32 v63, 0xbf59a7d5, v25
	v_add_f32_e32 v50, v58, v50
	v_mul_f32_e32 v58, 0x3f4c4adb, v18
	v_fmac_f32_e32 v56, 0xbf1a4643, v24
	v_mul_f32_e32 v19, 0x3f2c7751, v19
	v_add_f32_e32 v63, v63, v64
	v_mov_b32_e32 v64, v58
	v_add_f32_e32 v49, v56, v49
	v_fma_f32 v56, v25, s12, -v58
	v_fma_f32 v58, v24, s7, -v19
	v_fmac_f32_e32 v19, 0x3f3d2fb0, v24
	v_mul_f32_e32 v18, 0x3f2c7751, v18
	v_add_f32_e32 v19, v19, v20
	v_add_f32_e32 v20, v15, v17
	v_sub_f32_e32 v15, v15, v17
	v_add_f32_e32 v17, v14, v16
	v_sub_f32_e32 v14, v14, v16
	v_add_f32_e32 v52, v58, v52
	v_mov_b32_e32 v58, v18
	v_fma_f32 v18, v25, s7, -v18
	v_mul_f32_e32 v16, 0xbf763a35, v14
	v_add_f32_e32 v18, v18, v23
	v_fma_f32 v23, v20, s10, -v16
	v_mul_f32_e32 v24, 0xbf763a35, v15
	v_fmac_f32_e32 v16, 0xbe8c1d8e, v20
	v_fmac_f32_e32 v64, 0xbf1a4643, v25
	;; [unrolled: 1-line block ×3, first 2 shown]
	v_mov_b32_e32 v25, v24
	v_add_f32_e32 v16, v16, v26
	v_fma_f32 v24, v17, s10, -v24
	v_mul_f32_e32 v26, 0x3f06c442, v14
	v_add_f32_e32 v23, v23, v27
	v_add_f32_e32 v24, v24, v28
	v_fma_f32 v27, v20, s13, -v26
	v_mul_f32_e32 v28, 0x3f06c442, v15
	v_fmac_f32_e32 v26, 0xbf59a7d5, v20
	v_add_f32_e32 v27, v27, v31
	v_mov_b32_e32 v31, v28
	v_add_f32_e32 v26, v26, v29
	v_fma_f32 v28, v17, s13, -v28
	v_mul_f32_e32 v29, 0x3f2c7751, v14
	v_add_f32_e32 v28, v28, v30
	v_fma_f32 v30, v20, s7, -v29
	v_fmac_f32_e32 v25, 0xbe8c1d8e, v17
	v_add_f32_e32 v30, v30, v33
	v_mul_f32_e32 v33, 0x3f2c7751, v15
	v_fmac_f32_e32 v29, 0x3f3d2fb0, v20
	v_add_f32_e32 v25, v25, v55
	v_mov_b32_e32 v55, v33
	v_add_f32_e32 v29, v29, v32
	v_fma_f32 v32, v17, s7, -v33
	v_mul_f32_e32 v33, 0xbf65296c, v14
	v_add_f32_e32 v32, v32, v41
	v_fma_f32 v41, v20, s11, -v33
	v_add_f32_e32 v41, v41, v44
	v_mul_f32_e32 v44, 0xbf65296c, v15
	v_fmac_f32_e32 v33, 0x3ee437d1, v20
	v_add_f32_e32 v33, v33, v42
	v_fma_f32 v42, v17, s11, -v44
	v_fmac_f32_e32 v31, 0xbf59a7d5, v17
	v_add_f32_e32 v42, v42, v43
	v_mul_f32_e32 v43, 0xbe3c28d5, v14
	v_add_f32_e32 v31, v31, v57
	v_mov_b32_e32 v57, v44
	v_fma_f32 v44, v20, s14, -v43
	v_add_f32_e32 v44, v44, v46
	v_mul_f32_e32 v46, 0xbe3c28d5, v15
	v_fmac_f32_e32 v43, 0xbf7ba420, v20
	v_add_f32_e32 v54, v58, v54
	v_mov_b32_e32 v58, v46
	v_add_f32_e32 v43, v43, v45
	v_fma_f32 v45, v17, s14, -v46
	v_mul_f32_e32 v46, 0x3f7ee86f, v14
	v_add_f32_e32 v45, v45, v51
	v_fma_f32 v51, v20, s6, -v46
	v_fmac_f32_e32 v55, 0x3f3d2fb0, v17
	v_add_f32_e32 v48, v51, v48
	v_mul_f32_e32 v51, 0x3f7ee86f, v15
	v_fmac_f32_e32 v46, 0x3dbcf732, v20
	v_add_f32_e32 v55, v55, v59
	v_mov_b32_e32 v59, v51
	v_add_f32_e32 v46, v46, v47
	v_fma_f32 v47, v17, s6, -v51
	v_mul_f32_e32 v51, 0xbeb8f4ab, v14
	v_add_f32_e32 v68, v68, v74
	v_add_f32_e32 v47, v47, v53
	v_fma_f32 v53, v20, s9, -v51
	v_add_f32_e32 v60, v60, v68
	v_add_f32_e32 v50, v53, v50
	v_mul_f32_e32 v53, 0xbeb8f4ab, v15
	v_fmac_f32_e32 v51, 0x3f6eb680, v20
	v_mul_f32_e32 v14, 0xbf4c4adb, v14
	v_add_f32_e32 v56, v56, v60
	v_mov_b32_e32 v60, v53
	v_add_f32_e32 v49, v51, v49
	v_fma_f32 v51, v17, s9, -v53
	v_fma_f32 v53, v20, s12, -v14
	v_mul_f32_e32 v15, 0xbf4c4adb, v15
	v_add_f32_e32 v52, v53, v52
	v_mov_b32_e32 v53, v15
	v_fma_f32 v15, v17, s12, -v15
	v_add_f32_e32 v15, v15, v18
	v_add_f32_e32 v18, v11, v13
	v_sub_f32_e32 v11, v11, v13
	v_fmac_f32_e32 v57, 0x3ee437d1, v17
	v_fmac_f32_e32 v58, 0xbf7ba420, v17
	;; [unrolled: 1-line block ×6, first 2 shown]
	v_add_f32_e32 v17, v10, v12
	v_sub_f32_e32 v10, v10, v12
	v_mul_f32_e32 v12, 0xbf4c4adb, v11
	v_add_f32_e32 v14, v14, v19
	v_fma_f32 v13, v17, s12, -v12
	v_mul_f32_e32 v19, 0xbf4c4adb, v10
	v_fmac_f32_e32 v12, 0xbf1a4643, v17
	v_mov_b32_e32 v20, v19
	v_add_f32_e32 v12, v12, v16
	v_fma_f32 v16, v18, s12, -v19
	v_mul_f32_e32 v19, 0x3f763a35, v11
	v_add_f32_e32 v13, v13, v23
	v_fmac_f32_e32 v20, 0xbf1a4643, v18
	v_add_f32_e32 v16, v16, v24
	v_fma_f32 v23, v17, s10, -v19
	v_mul_f32_e32 v24, 0x3f763a35, v10
	v_fmac_f32_e32 v19, 0xbe8c1d8e, v17
	v_add_f32_e32 v20, v20, v25
	v_mov_b32_e32 v25, v24
	v_add_f32_e32 v19, v19, v26
	v_fma_f32 v24, v18, s10, -v24
	v_mul_f32_e32 v26, 0xbeb8f4ab, v11
	v_add_f32_e32 v23, v23, v27
	v_add_f32_e32 v24, v24, v28
	v_fma_f32 v27, v17, s9, -v26
	v_mul_f32_e32 v28, 0xbeb8f4ab, v10
	v_fmac_f32_e32 v26, 0x3f6eb680, v17
	v_fmac_f32_e32 v25, 0xbe8c1d8e, v18
	v_add_f32_e32 v27, v27, v30
	v_mov_b32_e32 v30, v28
	v_add_f32_e32 v26, v26, v29
	v_fma_f32 v28, v18, s9, -v28
	v_mul_f32_e32 v29, 0xbf06c442, v11
	v_add_f32_e32 v25, v25, v31
	v_add_f32_e32 v28, v28, v32
	v_fma_f32 v31, v17, s13, -v29
	v_mul_f32_e32 v32, 0xbf06c442, v10
	v_fmac_f32_e32 v29, 0xbf59a7d5, v17
	v_add_f32_e32 v31, v31, v41
	v_mov_b32_e32 v41, v32
	v_add_f32_e32 v29, v29, v33
	v_fma_f32 v32, v18, s13, -v32
	v_mul_f32_e32 v33, 0x3f7ee86f, v11
	v_add_f32_e32 v32, v32, v42
	v_fma_f32 v42, v17, s6, -v33
	v_add_f32_e32 v42, v42, v44
	v_mul_f32_e32 v44, 0x3f7ee86f, v10
	v_fmac_f32_e32 v33, 0x3dbcf732, v17
	v_add_f32_e32 v53, v53, v54
	v_mov_b32_e32 v54, v44
	v_add_f32_e32 v33, v33, v43
	v_fma_f32 v43, v18, s6, -v44
	v_mul_f32_e32 v44, 0xbf2c7751, v11
	v_add_f32_e32 v43, v43, v45
	v_fma_f32 v45, v17, s7, -v44
	v_add_f32_e32 v45, v45, v48
	v_mul_f32_e32 v48, 0xbf2c7751, v10
	v_fmac_f32_e32 v44, 0x3f3d2fb0, v17
	v_add_f32_e32 v44, v44, v46
	v_fma_f32 v46, v18, s7, -v48
	v_fmac_f32_e32 v30, 0x3f6eb680, v18
	v_add_f32_e32 v46, v46, v47
	v_mul_f32_e32 v47, 0xbe3c28d5, v11
	v_add_f32_e32 v30, v30, v55
	v_mov_b32_e32 v55, v48
	v_fma_f32 v48, v17, s14, -v47
	v_add_f32_e32 v48, v48, v50
	v_mul_f32_e32 v50, 0xbe3c28d5, v10
	v_fmac_f32_e32 v47, 0xbf7ba420, v17
	v_add_f32_e32 v51, v51, v56
	v_add_f32_e32 v47, v47, v49
	v_fma_f32 v49, v18, s14, -v50
	v_mul_f32_e32 v10, 0x3f65296c, v10
	v_add_f32_e32 v49, v49, v51
	v_mul_f32_e32 v11, 0x3f65296c, v11
	v_mov_b32_e32 v51, v10
	v_fma_f32 v10, v18, s11, -v10
	v_mov_b32_e32 v56, v50
	v_fma_f32 v50, v17, s11, -v11
	v_fmac_f32_e32 v11, 0x3ee437d1, v17
	v_add_f32_e32 v10, v10, v15
	v_add_f32_e32 v15, v7, v9
	v_sub_f32_e32 v7, v7, v9
	v_add_f32_e32 v11, v11, v14
	v_add_f32_e32 v14, v6, v8
	v_sub_f32_e32 v6, v6, v8
	v_mul_f32_e32 v8, 0xbf06c442, v7
	v_fma_f32 v9, v14, s13, -v8
	v_add_f32_e32 v9, v9, v13
	v_mul_f32_e32 v13, 0xbf06c442, v6
	v_mov_b32_e32 v17, v13
	v_fmac_f32_e32 v8, 0xbf59a7d5, v14
	v_fmac_f32_e32 v41, 0xbf59a7d5, v18
	;; [unrolled: 1-line block ×7, first 2 shown]
	v_add_f32_e32 v8, v8, v12
	v_fma_f32 v12, v15, s13, -v13
	v_mul_f32_e32 v13, 0x3f65296c, v7
	v_mul_f32_e32 v18, 0x3f65296c, v6
	v_add_f32_e32 v17, v17, v20
	v_add_f32_e32 v12, v12, v16
	v_fma_f32 v16, v14, s11, -v13
	v_mov_b32_e32 v20, v18
	v_fmac_f32_e32 v13, 0x3ee437d1, v14
	v_fmac_f32_e32 v20, 0x3ee437d1, v15
	v_add_f32_e32 v13, v13, v19
	v_mul_f32_e32 v19, 0xbf7ee86f, v7
	v_add_f32_e32 v50, v50, v52
	v_add_f32_e32 v52, v20, v25
	v_fma_f32 v20, v14, s6, -v19
	v_add_f32_e32 v27, v20, v27
	v_mul_f32_e32 v20, 0xbf7ee86f, v6
	v_add_f32_e32 v16, v16, v23
	v_mov_b32_e32 v23, v20
	v_fmac_f32_e32 v19, 0x3dbcf732, v14
	v_fma_f32 v20, v15, s6, -v20
	v_fmac_f32_e32 v23, 0x3dbcf732, v15
	v_add_f32_e32 v19, v19, v26
	v_add_f32_e32 v26, v20, v28
	v_mul_f32_e32 v20, 0x3f4c4adb, v7
	v_add_f32_e32 v30, v23, v30
	v_fma_f32 v23, v14, s12, -v20
	v_add_f32_e32 v71, v71, v73
	v_add_f32_e32 v58, v58, v62
	v_add_f32_e32 v51, v51, v53
	v_add_f32_e32 v53, v23, v31
	v_mul_f32_e32 v23, 0x3f4c4adb, v6
	v_fmac_f32_e32 v20, 0xbf1a4643, v14
	v_add_f32_e32 v65, v65, v71
	v_add_f32_e32 v59, v59, v63
	;; [unrolled: 1-line block ×4, first 2 shown]
	v_fma_f32 v20, v15, s12, -v23
	v_add_f32_e32 v64, v64, v65
	v_add_f32_e32 v55, v55, v59
	v_fma_f32 v18, v15, s11, -v18
	v_add_f32_e32 v59, v20, v32
	v_mul_f32_e32 v20, 0xbeb8f4ab, v7
	v_add_f32_e32 v60, v60, v64
	v_add_f32_e32 v18, v18, v24
	v_mov_b32_e32 v24, v23
	v_fma_f32 v23, v14, s9, -v20
	v_add_f32_e32 v56, v56, v60
	v_add_f32_e32 v60, v23, v42
	v_mul_f32_e32 v23, 0xbeb8f4ab, v6
	v_fmac_f32_e32 v20, 0x3f6eb680, v14
	v_add_f32_e32 v57, v57, v61
	v_add_f32_e32 v61, v20, v33
	v_fma_f32 v20, v15, s9, -v23
	v_add_f32_e32 v41, v41, v57
	v_fmac_f32_e32 v24, 0xbf1a4643, v15
	v_add_f32_e32 v62, v20, v43
	v_mul_f32_e32 v20, 0xbe3c28d5, v7
	v_add_f32_e32 v57, v24, v41
	v_mov_b32_e32 v24, v23
	v_fma_f32 v23, v14, s14, -v20
	v_add_f32_e32 v45, v23, v45
	v_mul_f32_e32 v23, 0xbe3c28d5, v6
	v_fmac_f32_e32 v20, 0xbf7ba420, v14
	v_add_f32_e32 v44, v20, v44
	v_fma_f32 v20, v15, s14, -v23
	v_fmac_f32_e32 v24, 0x3f6eb680, v15
	v_add_f32_e32 v46, v20, v46
	v_mul_f32_e32 v20, 0x3f2c7751, v7
	v_add_f32_e32 v54, v24, v54
	v_mov_b32_e32 v24, v23
	v_fma_f32 v23, v14, s7, -v20
	v_add_f32_e32 v48, v23, v48
	v_mul_f32_e32 v23, 0x3f2c7751, v6
	v_fmac_f32_e32 v20, 0x3f3d2fb0, v14
	v_add_f32_e32 v47, v20, v47
	v_fma_f32 v20, v15, s7, -v23
	v_mul_f32_e32 v7, 0xbf763a35, v7
	v_add_f32_e32 v49, v20, v49
	v_fma_f32 v20, v14, s10, -v7
	v_mul_f32_e32 v6, 0xbf763a35, v6
	v_add_f32_e32 v50, v20, v50
	v_mov_b32_e32 v20, v6
	v_fma_f32 v6, v15, s10, -v6
	v_sub_f32_e32 v64, v3, v5
	v_add_f32_e32 v28, v6, v10
	v_add_f32_e32 v63, v2, v4
	v_sub_f32_e32 v10, v2, v4
	v_mul_f32_e32 v2, 0xbe3c28d5, v64
	v_add_f32_e32 v29, v3, v5
	v_fma_f32 v3, v63, s14, -v2
	v_add_f32_e32 v25, v3, v9
	v_mul_f32_e32 v3, 0xbe3c28d5, v10
	v_fmac_f32_e32 v2, 0xbf7ba420, v63
	v_add_f32_e32 v33, v2, v8
	v_fma_f32 v2, v29, s14, -v3
	v_add_f32_e32 v41, v2, v12
	v_mul_f32_e32 v2, 0x3eb8f4ab, v64
	v_fmac_f32_e32 v24, 0xbf7ba420, v15
	v_mov_b32_e32 v4, v3
	v_fma_f32 v3, v63, s9, -v2
	v_add_f32_e32 v55, v24, v55
	v_mov_b32_e32 v24, v23
	v_add_f32_e32 v23, v3, v16
	v_mul_f32_e32 v3, 0x3eb8f4ab, v10
	v_fmac_f32_e32 v2, 0x3f6eb680, v63
	v_add_f32_e32 v31, v2, v13
	v_fma_f32 v2, v29, s9, -v3
	v_fmac_f32_e32 v4, 0xbf7ba420, v29
	v_add_f32_e32 v32, v2, v18
	v_mul_f32_e32 v2, 0xbf06c442, v64
	v_add_f32_e32 v43, v4, v17
	v_mov_b32_e32 v4, v3
	v_fma_f32 v3, v63, s13, -v2
	v_fmac_f32_e32 v24, 0x3f3d2fb0, v15
	v_fmac_f32_e32 v4, 0x3f6eb680, v29
	v_add_f32_e32 v12, v3, v27
	v_mul_f32_e32 v3, 0xbf06c442, v10
	v_add_f32_e32 v56, v24, v56
	v_add_f32_e32 v24, v4, v52
	v_mov_b32_e32 v4, v3
	v_fmac_f32_e32 v4, 0xbf59a7d5, v29
	v_add_f32_e32 v42, v4, v30
	v_fmac_f32_e32 v2, 0xbf59a7d5, v63
	v_mul_f32_e32 v4, 0x3f2c7751, v10
	v_add_f32_e32 v27, v2, v19
	v_fma_f32 v2, v29, s13, -v3
	v_mul_f32_e32 v3, 0x3f2c7751, v64
	v_mov_b32_e32 v5, v4
	v_fmac_f32_e32 v20, 0xbe8c1d8e, v15
	v_fmac_f32_e32 v7, 0xbe8c1d8e, v14
	v_add_f32_e32 v30, v2, v26
	v_fma_f32 v2, v63, s7, -v3
	v_fmac_f32_e32 v5, 0x3f3d2fb0, v29
	v_fmac_f32_e32 v3, 0x3f3d2fb0, v63
	v_add_f32_e32 v51, v20, v51
	v_add_f32_e32 v20, v7, v11
	v_add_f32_e32 v11, v5, v57
	v_add_f32_e32 v19, v3, v58
	v_fma_f32 v3, v29, s7, -v4
	v_mul_f32_e32 v5, 0xbf4c4adb, v64
	v_add_f32_e32 v26, v3, v59
	v_fma_f32 v3, v63, s12, -v5
	v_mul_f32_e32 v6, 0xbf4c4adb, v10
	v_fmac_f32_e32 v5, 0xbf1a4643, v63
	v_add_f32_e32 v17, v5, v61
	v_fma_f32 v5, v29, s12, -v6
	v_mul_f32_e32 v7, 0x3f65296c, v64
	v_add_f32_e32 v18, v5, v62
	v_fma_f32 v5, v63, s11, -v7
	v_mul_f32_e32 v8, 0x3f65296c, v10
	v_fmac_f32_e32 v7, 0x3ee437d1, v63
	v_add_f32_e32 v15, v7, v44
	v_fma_f32 v7, v29, s11, -v8
	v_mul_f32_e32 v9, 0xbf763a35, v64
	v_add_f32_e32 v16, v7, v46
	v_fma_f32 v7, v63, s10, -v9
	v_mul_f32_e32 v14, 0xbf763a35, v10
	v_fmac_f32_e32 v9, 0xbe8c1d8e, v63
	v_add_f32_e32 v13, v9, v47
	v_fma_f32 v9, v29, s10, -v14
	v_mul_f32_e32 v44, 0x3f7ee86f, v64
	v_mov_b32_e32 v4, v6
	v_add_f32_e32 v5, v5, v45
	v_mov_b32_e32 v6, v8
	v_mov_b32_e32 v8, v14
	v_add_f32_e32 v14, v9, v49
	v_fma_f32 v9, v63, s6, -v44
	v_mul_f32_e32 v45, 0x3f7ee86f, v10
	v_fmac_f32_e32 v44, 0x3dbcf732, v63
	v_add_f32_e32 v46, v44, v20
	v_fma_f32 v20, v29, s6, -v45
	v_mov_b32_e32 v10, v45
	v_add_f32_e32 v45, v20, v28
	v_lshrrev_b32_e32 v28, 2, v22
	v_fmac_f32_e32 v4, 0xbf1a4643, v29
	v_fmac_f32_e32 v6, 0x3ee437d1, v29
	;; [unrolled: 1-line block ×4, first 2 shown]
	v_and_b32_e32 v20, 31, v22
	v_and_b32_e32 v28, 0xf8, v28
	s_add_i32 s6, 0, 0x3f38
	v_lshrrev_b32_e32 v29, 7, v22
	v_lshl_add_u32 v20, v20, 3, 0
	v_add_u32_e32 v28, s6, v28
	v_and_b32_e32 v29, 0xf8, v29
	v_add_u32_e32 v47, s6, v29
	v_lshl_add_u32 v44, v21, 4, v21
	ds_read_b64 v[20:21], v20 offset:16184
	ds_read_b64 v[28:29], v28 offset:256
	v_add_u32_e32 v22, v22, v44
	v_add_f32_e32 v7, v7, v48
	v_and_b32_e32 v48, 31, v22
	v_lshl_add_u32 v49, v48, 3, 0
	v_add_f32_e32 v9, v9, v50
	ds_read_b64 v[47:48], v47 offset:512
	ds_read_b64 v[49:50], v49 offset:16184
	v_add_f32_e32 v10, v10, v51
	s_waitcnt lgkmcnt(2)
	v_mul_f32_e32 v51, v21, v29
	v_fma_f32 v51, v20, v28, -v51
	v_mul_f32_e32 v20, v20, v29
	v_fmac_f32_e32 v20, v21, v28
	s_waitcnt lgkmcnt(1)
	v_mul_f32_e32 v21, v20, v48
	v_fma_f32 v28, v47, v51, -v21
	v_mul_f32_e32 v21, v51, v48
	v_fmac_f32_e32 v21, v47, v20
	v_mul_f32_e32 v20, v1, v21
	v_mul_f32_e32 v21, v0, v21
	v_fmac_f32_e32 v21, v1, v28
	v_lshrrev_b32_e32 v1, 7, v22
	v_fma_f32 v20, v0, v28, -v20
	v_lshrrev_b32_e32 v0, 2, v22
	v_and_b32_e32 v1, 0xf8, v1
	v_add_u32_e32 v22, v22, v44
	v_and_b32_e32 v0, 0xf8, v0
	v_add_u32_e32 v28, s6, v1
	;; [unrolled: 2-line block ×3, first 2 shown]
	v_lshl_add_u32 v47, v1, 3, 0
	v_lshrrev_b32_e32 v1, 2, v22
	v_and_b32_e32 v29, 0xf8, v1
	ds_read_b64 v[0:1], v0 offset:256
	v_add_u32_e32 v51, s6, v29
	ds_read_b64 v[28:29], v28 offset:512
	ds_read_b64 v[47:48], v47 offset:16184
	;; [unrolled: 1-line block ×3, first 2 shown]
	v_add_f32_e32 v2, v2, v53
	v_add_f32_e32 v4, v4, v54
	s_waitcnt lgkmcnt(3)
	v_mul_f32_e32 v53, v50, v1
	v_mul_f32_e32 v1, v49, v1
	v_fma_f32 v53, v49, v0, -v53
	v_fmac_f32_e32 v1, v50, v0
	s_waitcnt lgkmcnt(2)
	v_mul_f32_e32 v0, v1, v29
	v_mul_f32_e32 v29, v53, v29
	v_fmac_f32_e32 v29, v28, v1
	v_fma_f32 v0, v28, v53, -v0
	v_mul_f32_e32 v1, v43, v29
	v_fma_f32 v28, v25, v0, -v1
	s_waitcnt lgkmcnt(0)
	v_mul_f32_e32 v1, v48, v52
	v_add_u32_e32 v53, v22, v44
	v_mul_f32_e32 v29, v25, v29
	v_fma_f32 v25, v47, v51, -v1
	v_and_b32_e32 v1, 31, v53
	v_fmac_f32_e32 v29, v43, v0
	v_lshrrev_b32_e32 v0, 7, v22
	v_lshl_add_u32 v22, v1, 3, 0
	v_lshrrev_b32_e32 v1, 2, v53
	v_and_b32_e32 v0, 0xf8, v0
	v_and_b32_e32 v1, 0xf8, v1
	v_add_u32_e32 v0, s6, v0
	v_add_u32_e32 v49, s6, v1
	v_lshrrev_b32_e32 v1, 7, v53
	v_mul_f32_e32 v43, v47, v52
	v_and_b32_e32 v47, 0xf8, v1
	ds_read_b64 v[0:1], v0 offset:512
	v_fmac_f32_e32 v43, v48, v51
	v_add_u32_e32 v51, s6, v47
	ds_read_b64 v[47:48], v22 offset:16184
	ds_read_b64 v[49:50], v49 offset:256
	;; [unrolled: 1-line block ×3, first 2 shown]
	v_add_f32_e32 v3, v3, v60
	s_waitcnt lgkmcnt(3)
	v_mul_f32_e32 v22, v43, v1
	v_mul_f32_e32 v1, v25, v1
	v_fmac_f32_e32 v1, v0, v43
	v_fma_f32 v54, v0, v25, -v22
	v_mul_f32_e32 v0, v24, v1
	v_fma_f32 v22, v23, v54, -v0
	v_mul_f32_e32 v23, v23, v1
	s_waitcnt lgkmcnt(1)
	v_mul_f32_e32 v1, v47, v50
	v_mul_f32_e32 v0, v48, v50
	v_fmac_f32_e32 v1, v48, v49
	v_fmac_f32_e32 v23, v24, v54
	v_fma_f32 v0, v47, v49, -v0
	s_waitcnt lgkmcnt(0)
	v_mul_f32_e32 v24, v1, v52
	v_fma_f32 v43, v51, v0, -v24
	v_mul_f32_e32 v0, v0, v52
	v_fmac_f32_e32 v0, v51, v1
	v_mul_f32_e32 v1, v42, v0
	v_mul_f32_e32 v25, v12, v0
	v_add_u32_e32 v0, v53, v44
	v_fma_f32 v24, v12, v43, -v1
	v_fmac_f32_e32 v25, v42, v43
	v_and_b32_e32 v1, 31, v0
	v_lshrrev_b32_e32 v12, 2, v0
	v_lshrrev_b32_e32 v42, 7, v0
	v_lshl_add_u32 v1, v1, 3, 0
	v_and_b32_e32 v12, 0xf8, v12
	v_and_b32_e32 v42, 0xf8, v42
	v_add_u32_e32 v12, s6, v12
	v_add_u32_e32 v47, s6, v42
	;; [unrolled: 1-line block ×3, first 2 shown]
	ds_read_b64 v[0:1], v1 offset:16184
	ds_read_b64 v[42:43], v12 offset:256
	v_and_b32_e32 v12, 31, v51
	v_lshl_add_u32 v12, v12, 3, 0
	ds_read_b64 v[47:48], v47 offset:512
	ds_read_b64 v[49:50], v12 offset:16184
	v_add_u32_e32 v53, v51, v44
	s_waitcnt lgkmcnt(2)
	v_mul_f32_e32 v12, v1, v43
	v_fma_f32 v12, v0, v42, -v12
	v_mul_f32_e32 v0, v0, v43
	v_fmac_f32_e32 v0, v1, v42
	s_waitcnt lgkmcnt(1)
	v_mul_f32_e32 v1, v0, v48
	v_fma_f32 v42, v47, v12, -v1
	v_mul_f32_e32 v1, v12, v48
	v_fmac_f32_e32 v1, v47, v0
	v_mul_f32_e32 v0, v11, v1
	v_mul_f32_e32 v1, v2, v1
	v_fmac_f32_e32 v1, v11, v42
	v_lshrrev_b32_e32 v11, 7, v51
	v_fma_f32 v0, v2, v42, -v0
	v_lshrrev_b32_e32 v2, 2, v51
	v_and_b32_e32 v11, 0xf8, v11
	v_and_b32_e32 v2, 0xf8, v2
	v_add_u32_e32 v42, s6, v11
	v_and_b32_e32 v11, 31, v53
	v_add_u32_e32 v2, s6, v2
	v_lshl_add_u32 v47, v11, 3, 0
	v_lshrrev_b32_e32 v11, 2, v53
	v_and_b32_e32 v43, 0xf8, v11
	ds_read_b64 v[11:12], v2 offset:256
	v_add_u32_e32 v2, s6, v43
	ds_read_b64 v[42:43], v42 offset:512
	ds_read_b64 v[47:48], v47 offset:16184
	;; [unrolled: 1-line block ×3, first 2 shown]
	v_add_f32_e32 v6, v6, v55
	v_add_f32_e32 v8, v8, v56
	s_waitcnt lgkmcnt(3)
	v_mul_f32_e32 v2, v50, v12
	v_mul_f32_e32 v12, v49, v12
	v_fma_f32 v2, v49, v11, -v2
	v_fmac_f32_e32 v12, v50, v11
	s_waitcnt lgkmcnt(2)
	v_mul_f32_e32 v11, v12, v43
	v_mul_f32_e32 v43, v2, v43
	v_fmac_f32_e32 v43, v42, v12
	v_fma_f32 v11, v42, v2, -v11
	v_mul_f32_e32 v2, v4, v43
	v_fma_f32 v2, v3, v11, -v2
	v_mul_f32_e32 v3, v3, v43
	v_fmac_f32_e32 v3, v4, v11
	s_waitcnt lgkmcnt(0)
	v_mul_f32_e32 v11, v48, v52
	v_mul_f32_e32 v52, v47, v52
	v_fma_f32 v54, v47, v51, -v11
	v_fmac_f32_e32 v52, v48, v51
	v_add_u32_e32 v51, v53, v44
	v_and_b32_e32 v11, 31, v51
	v_lshrrev_b32_e32 v4, 7, v53
	v_lshl_add_u32 v42, v11, 3, 0
	v_lshrrev_b32_e32 v11, 2, v51
	v_and_b32_e32 v4, 0xf8, v4
	v_and_b32_e32 v11, 0xf8, v11
	v_add_u32_e32 v4, s6, v4
	v_add_u32_e32 v47, s6, v11
	v_lshrrev_b32_e32 v11, 7, v51
	v_and_b32_e32 v43, 0xf8, v11
	ds_read_b64 v[11:12], v4 offset:512
	v_add_u32_e32 v4, s6, v43
	ds_read_b64 v[42:43], v42 offset:16184
	ds_read_b64 v[47:48], v47 offset:256
	;; [unrolled: 1-line block ×3, first 2 shown]
	s_waitcnt lgkmcnt(3)
	v_mul_f32_e32 v4, v52, v12
	v_mul_f32_e32 v12, v54, v12
	v_fmac_f32_e32 v12, v11, v52
	v_fma_f32 v53, v11, v54, -v4
	v_mul_f32_e32 v4, v6, v12
	v_fma_f32 v4, v5, v53, -v4
	v_mul_f32_e32 v5, v5, v12
	v_fmac_f32_e32 v5, v6, v53
	s_waitcnt lgkmcnt(1)
	v_mul_f32_e32 v6, v43, v48
	v_fma_f32 v6, v42, v47, -v6
	v_mul_f32_e32 v11, v42, v48
	v_fmac_f32_e32 v11, v43, v47
	s_waitcnt lgkmcnt(0)
	v_mul_f32_e32 v42, v6, v50
	v_mul_f32_e32 v12, v11, v50
	v_fmac_f32_e32 v42, v49, v11
	v_fma_f32 v12, v49, v6, -v12
	v_mul_f32_e32 v6, v8, v42
	v_fma_f32 v6, v7, v12, -v6
	v_mul_f32_e32 v7, v7, v42
	v_fmac_f32_e32 v7, v8, v12
	v_add_u32_e32 v8, v51, v44
	v_lshrrev_b32_e32 v12, 2, v8
	v_and_b32_e32 v12, 0xf8, v12
	v_and_b32_e32 v11, 31, v8
	v_add_u32_e32 v42, s6, v12
	v_lshrrev_b32_e32 v12, 7, v8
	v_lshl_add_u32 v11, v11, 3, 0
	v_and_b32_e32 v12, 0xf8, v12
	v_add_u32_e32 v47, s6, v12
	ds_read_b64 v[11:12], v11 offset:16184
	ds_read_b64 v[42:43], v42 offset:256
	v_add_u32_e32 v51, v8, v44
	v_and_b32_e32 v8, 31, v51
	v_lshl_add_u32 v8, v8, 3, 0
	ds_read_b64 v[47:48], v47 offset:512
	ds_read_b64 v[49:50], v8 offset:16184
	s_waitcnt lgkmcnt(2)
	v_mul_f32_e32 v8, v12, v43
	v_fma_f32 v8, v11, v42, -v8
	v_mul_f32_e32 v11, v11, v43
	v_fmac_f32_e32 v11, v12, v42
	s_waitcnt lgkmcnt(1)
	v_mul_f32_e32 v42, v8, v48
	v_mul_f32_e32 v12, v11, v48
	v_fmac_f32_e32 v42, v47, v11
	v_fma_f32 v12, v47, v8, -v12
	v_mul_f32_e32 v8, v10, v42
	v_fma_f32 v8, v9, v12, -v8
	v_mul_f32_e32 v9, v9, v42
	v_lshrrev_b32_e32 v11, 7, v51
	v_fmac_f32_e32 v9, v10, v12
	v_lshrrev_b32_e32 v10, 2, v51
	v_and_b32_e32 v11, 0xf8, v11
	v_add_u32_e32 v53, v51, v44
	v_and_b32_e32 v10, 0xf8, v10
	v_add_u32_e32 v12, s6, v11
	;; [unrolled: 2-line block ×3, first 2 shown]
	v_lshl_add_u32 v47, v11, 3, 0
	v_lshrrev_b32_e32 v11, 2, v53
	v_and_b32_e32 v42, 0xf8, v11
	ds_read_b64 v[10:11], v10 offset:256
	v_add_u32_e32 v51, s6, v42
	ds_read_b64 v[42:43], v12 offset:512
	ds_read_b64 v[47:48], v47 offset:16184
	;; [unrolled: 1-line block ×3, first 2 shown]
	s_waitcnt lgkmcnt(3)
	v_mul_f32_e32 v12, v50, v11
	v_mul_f32_e32 v11, v49, v11
	v_fmac_f32_e32 v11, v50, v10
	v_fma_f32 v12, v49, v10, -v12
	s_waitcnt lgkmcnt(2)
	v_mul_f32_e32 v10, v11, v43
	v_fma_f32 v49, v42, v12, -v10
	v_mul_f32_e32 v12, v12, v43
	v_fmac_f32_e32 v12, v42, v11
	s_waitcnt lgkmcnt(0)
	v_mul_f32_e32 v42, v48, v52
	v_mul_f32_e32 v52, v47, v52
	v_fma_f32 v54, v47, v51, -v42
	v_fmac_f32_e32 v52, v48, v51
	v_add_u32_e32 v51, v53, v44
	v_mul_f32_e32 v11, v46, v12
	v_and_b32_e32 v42, 31, v51
	v_mul_f32_e32 v10, v45, v12
	v_fmac_f32_e32 v11, v45, v49
	v_lshrrev_b32_e32 v12, 7, v53
	v_lshl_add_u32 v45, v42, 3, 0
	v_lshrrev_b32_e32 v42, 2, v51
	v_and_b32_e32 v12, 0xf8, v12
	v_and_b32_e32 v42, 0xf8, v42
	v_add_u32_e32 v12, s6, v12
	v_add_u32_e32 v47, s6, v42
	v_lshrrev_b32_e32 v42, 7, v51
	v_fma_f32 v10, v46, v49, -v10
	v_and_b32_e32 v46, 0xf8, v42
	ds_read_b64 v[42:43], v12 offset:512
	v_add_u32_e32 v12, s6, v46
	ds_read_b64 v[45:46], v45 offset:16184
	ds_read_b64 v[47:48], v47 offset:256
	;; [unrolled: 1-line block ×3, first 2 shown]
	s_waitcnt lgkmcnt(3)
	v_mul_f32_e32 v12, v52, v43
	v_mul_f32_e32 v43, v54, v43
	v_fmac_f32_e32 v43, v42, v52
	v_fma_f32 v53, v42, v54, -v12
	v_mul_f32_e32 v12, v14, v43
	v_fma_f32 v12, v13, v53, -v12
	v_mul_f32_e32 v13, v13, v43
	v_fmac_f32_e32 v13, v14, v53
	s_waitcnt lgkmcnt(1)
	v_mul_f32_e32 v14, v46, v48
	v_fma_f32 v14, v45, v47, -v14
	v_mul_f32_e32 v42, v45, v48
	v_fmac_f32_e32 v42, v46, v47
	s_waitcnt lgkmcnt(0)
	v_mul_f32_e32 v45, v14, v50
	v_mul_f32_e32 v43, v42, v50
	v_fmac_f32_e32 v45, v49, v42
	v_fma_f32 v43, v49, v14, -v43
	v_mul_f32_e32 v14, v16, v45
	v_fma_f32 v14, v15, v43, -v14
	v_mul_f32_e32 v15, v15, v45
	v_fmac_f32_e32 v15, v16, v43
	v_add_u32_e32 v16, v51, v44
	v_lshrrev_b32_e32 v43, 2, v16
	v_and_b32_e32 v43, 0xf8, v43
	v_and_b32_e32 v42, 31, v16
	v_add_u32_e32 v45, s6, v43
	v_lshrrev_b32_e32 v43, 7, v16
	v_lshl_add_u32 v42, v42, 3, 0
	v_and_b32_e32 v43, 0xf8, v43
	v_add_u32_e32 v47, s6, v43
	ds_read_b64 v[42:43], v42 offset:16184
	ds_read_b64 v[45:46], v45 offset:256
	v_add_u32_e32 v51, v16, v44
	v_and_b32_e32 v16, 31, v51
	v_lshl_add_u32 v16, v16, 3, 0
	ds_read_b64 v[47:48], v47 offset:512
	ds_read_b64 v[49:50], v16 offset:16184
	s_waitcnt lgkmcnt(2)
	v_mul_f32_e32 v16, v43, v46
	v_fma_f32 v16, v42, v45, -v16
	v_mul_f32_e32 v42, v42, v46
	v_fmac_f32_e32 v42, v43, v45
	s_waitcnt lgkmcnt(1)
	v_mul_f32_e32 v45, v16, v48
	v_mul_f32_e32 v43, v42, v48
	v_fmac_f32_e32 v45, v47, v42
	v_fma_f32 v43, v47, v16, -v43
	v_mul_f32_e32 v16, v18, v45
	v_fma_f32 v16, v17, v43, -v16
	v_mul_f32_e32 v17, v17, v45
	v_lshrrev_b32_e32 v42, 7, v51
	v_fmac_f32_e32 v17, v18, v43
	v_lshrrev_b32_e32 v18, 2, v51
	v_and_b32_e32 v42, 0xf8, v42
	v_add_u32_e32 v53, v51, v44
	v_and_b32_e32 v18, 0xf8, v18
	v_add_u32_e32 v45, s6, v42
	v_and_b32_e32 v42, 31, v53
	v_add_u32_e32 v18, s6, v18
	v_lshl_add_u32 v47, v42, 3, 0
	v_lshrrev_b32_e32 v42, 2, v53
	v_and_b32_e32 v46, 0xf8, v42
	ds_read_b64 v[42:43], v18 offset:256
	v_add_u32_e32 v18, s6, v46
	ds_read_b64 v[45:46], v45 offset:512
	ds_read_b64 v[47:48], v47 offset:16184
	;; [unrolled: 1-line block ×3, first 2 shown]
	s_waitcnt lgkmcnt(3)
	v_mul_f32_e32 v18, v50, v43
	v_mul_f32_e32 v43, v49, v43
	v_fma_f32 v18, v49, v42, -v18
	v_fmac_f32_e32 v43, v50, v42
	s_waitcnt lgkmcnt(2)
	v_mul_f32_e32 v42, v43, v46
	v_mul_f32_e32 v46, v18, v46
	v_fmac_f32_e32 v46, v45, v43
	v_fma_f32 v42, v45, v18, -v42
	v_mul_f32_e32 v18, v26, v46
	v_fma_f32 v18, v19, v42, -v18
	v_mul_f32_e32 v19, v19, v46
	v_fmac_f32_e32 v19, v26, v42
	s_waitcnt lgkmcnt(0)
	v_mul_f32_e32 v42, v48, v52
	v_mul_f32_e32 v52, v47, v52
	v_fma_f32 v54, v47, v51, -v42
	v_fmac_f32_e32 v52, v48, v51
	v_add_u32_e32 v51, v53, v44
	v_and_b32_e32 v42, 31, v51
	v_lshrrev_b32_e32 v26, 7, v53
	v_lshl_add_u32 v45, v42, 3, 0
	v_lshrrev_b32_e32 v42, 2, v51
	v_and_b32_e32 v26, 0xf8, v26
	v_and_b32_e32 v42, 0xf8, v42
	v_add_u32_e32 v26, s6, v26
	v_add_u32_e32 v47, s6, v42
	v_lshrrev_b32_e32 v42, 7, v51
	v_and_b32_e32 v46, 0xf8, v42
	ds_read_b64 v[42:43], v26 offset:512
	v_add_u32_e32 v26, s6, v46
	ds_read_b64 v[45:46], v45 offset:16184
	ds_read_b64 v[47:48], v47 offset:256
	;; [unrolled: 1-line block ×3, first 2 shown]
	s_waitcnt lgkmcnt(3)
	v_mul_f32_e32 v26, v52, v43
	v_mul_f32_e32 v43, v54, v43
	v_fmac_f32_e32 v43, v42, v52
	v_fma_f32 v53, v42, v54, -v26
	v_mul_f32_e32 v26, v30, v43
	v_fma_f32 v26, v27, v53, -v26
	v_mul_f32_e32 v27, v27, v43
	v_fmac_f32_e32 v27, v30, v53
	s_waitcnt lgkmcnt(1)
	v_mul_f32_e32 v30, v46, v48
	v_fma_f32 v30, v45, v47, -v30
	v_mul_f32_e32 v42, v45, v48
	v_fmac_f32_e32 v42, v46, v47
	s_waitcnt lgkmcnt(0)
	v_mul_f32_e32 v45, v30, v50
	v_mul_f32_e32 v43, v42, v50
	v_fmac_f32_e32 v45, v49, v42
	v_fma_f32 v43, v49, v30, -v43
	v_mul_f32_e32 v30, v32, v45
	v_fma_f32 v30, v31, v43, -v30
	v_mul_f32_e32 v31, v31, v45
	v_fmac_f32_e32 v31, v32, v43
	v_add_u32_e32 v32, v51, v44
	v_lshrrev_b32_e32 v43, 2, v32
	v_and_b32_e32 v42, 31, v32
	v_and_b32_e32 v43, 0xf8, v43
	v_lshl_add_u32 v42, v42, 3, 0
	v_add_u32_e32 v44, s6, v43
	v_lshrrev_b32_e32 v32, 7, v32
	ds_read_b64 v[42:43], v42 offset:16184
	ds_read_b64 v[44:45], v44 offset:256
	v_and_b32_e32 v32, 0xf8, v32
	v_add_u32_e32 v32, s6, v32
	ds_read_b64 v[46:47], v32 offset:512
	s_waitcnt lgkmcnt(0)
	v_mul_f32_e32 v32, v43, v45
	v_fma_f32 v32, v42, v44, -v32
	v_mul_f32_e32 v42, v42, v45
	v_fmac_f32_e32 v42, v43, v44
	v_mul_f32_e32 v44, v32, v47
	v_mul_f32_e32 v43, v42, v47
	v_fmac_f32_e32 v44, v46, v42
	v_fma_f32 v43, v46, v32, -v43
	v_mul_f32_e32 v32, v41, v44
	v_fma_f32 v32, v33, v43, -v32
	v_mul_f32_e32 v33, v33, v44
	v_fmac_f32_e32 v33, v41, v43
	s_barrier
	ds_write2_b64 v40, v[20:21], v[28:29] offset1:17
	ds_write2_b64 v40, v[22:23], v[24:25] offset0:34 offset1:51
	ds_write2_b64 v40, v[0:1], v[2:3] offset0:68 offset1:85
	;; [unrolled: 1-line block ×7, first 2 shown]
	ds_write_b64 v40, v[32:33] offset:2176
	s_waitcnt lgkmcnt(0)
	s_barrier
	s_and_saveexec_b64 s[6:7], s[0:1]
	s_cbranch_execz .LBB0_18
; %bb.17:
	v_mad_u64_u32 v[4:5], s[0:1], s18, v38, 0
	s_mul_i32 s5, s5, s8
	s_mul_hi_u32 s6, s4, s8
	s_add_i32 s1, s6, s5
	v_mad_u64_u32 v[6:7], s[6:7], s16, v34, 0
	v_mov_b32_e32 v0, v5
	v_mad_u64_u32 v[0:1], s[6:7], s19, v38, v[0:1]
	v_mov_b32_e32 v1, v7
	v_mad_u64_u32 v[1:2], s[6:7], s17, v34, v[1:2]
	s_movk_i32 s0, 0x908
	v_mul_lo_u32 v2, v38, s0
	s_mul_i32 s0, s4, s8
	s_lshl_b64 s[0:1], s[0:1], 3
	s_add_u32 s4, s22, s0
	v_mov_b32_e32 v5, v0
	s_addc_u32 s5, s23, s1
	s_lshl_b64 s[0:1], s[2:3], 3
	s_add_u32 s0, s4, s0
	v_lshlrev_b64 v[4:5], 3, v[4:5]
	s_addc_u32 s1, s5, s1
	v_mov_b32_e32 v7, v1
	v_mov_b32_e32 v8, s1
	v_add_co_u32_e32 v11, vcc, s0, v4
	v_addc_co_u32_e32 v12, vcc, v8, v5, vcc
	v_lshlrev_b64 v[4:5], 3, v[6:7]
	v_mad_u64_u32 v[6:7], s[0:1], s16, v37, 0
	v_add3_u32 v10, 0, v2, v39
	ds_read2_b64 v[0:3], v10 offset1:17
	v_mad_u64_u32 v[7:8], s[0:1], s17, v37, v[7:8]
	v_mad_u64_u32 v[8:9], s[0:1], s16, v36, 0
	v_add_co_u32_e32 v4, vcc, v11, v4
	v_addc_co_u32_e32 v5, vcc, v12, v5, vcc
	s_waitcnt lgkmcnt(0)
	global_store_dwordx2 v[4:5], v[0:1], off
	v_mov_b32_e32 v4, v9
	v_mad_u64_u32 v[4:5], s[0:1], s17, v36, v[4:5]
	v_lshlrev_b64 v[0:1], 3, v[6:7]
	v_mad_u64_u32 v[6:7], s[0:1], s16, v35, 0
	v_add_co_u32_e32 v0, vcc, v11, v0
	v_addc_co_u32_e32 v1, vcc, v12, v1, vcc
	v_mov_b32_e32 v9, v4
	global_store_dwordx2 v[0:1], v[2:3], off
	ds_read2_b64 v[0:3], v10 offset0:34 offset1:51
	v_lshlrev_b64 v[4:5], 3, v[8:9]
	v_mad_u64_u32 v[7:8], s[0:1], s17, v35, v[7:8]
	v_add_u32_e32 v13, 0x44, v34
	v_mad_u64_u32 v[8:9], s[0:1], s16, v13, 0
	v_add_co_u32_e32 v4, vcc, v11, v4
	v_addc_co_u32_e32 v5, vcc, v12, v5, vcc
	s_waitcnt lgkmcnt(0)
	global_store_dwordx2 v[4:5], v[0:1], off
	v_mov_b32_e32 v4, v9
	v_mad_u64_u32 v[4:5], s[0:1], s17, v13, v[4:5]
	v_lshlrev_b64 v[0:1], 3, v[6:7]
	v_add_u32_e32 v13, 0x66, v34
	v_mov_b32_e32 v9, v4
	v_lshlrev_b64 v[4:5], 3, v[8:9]
	v_add_u32_e32 v8, 0x55, v34
	v_mad_u64_u32 v[6:7], s[0:1], s16, v8, 0
	v_add_co_u32_e32 v0, vcc, v11, v0
	v_addc_co_u32_e32 v1, vcc, v12, v1, vcc
	global_store_dwordx2 v[0:1], v[2:3], off
	ds_read2_b64 v[0:3], v10 offset0:68 offset1:85
	v_mad_u64_u32 v[7:8], s[0:1], s17, v8, v[7:8]
	v_mad_u64_u32 v[8:9], s[0:1], s16, v13, 0
	v_add_co_u32_e32 v4, vcc, v11, v4
	v_addc_co_u32_e32 v5, vcc, v12, v5, vcc
	s_waitcnt lgkmcnt(0)
	global_store_dwordx2 v[4:5], v[0:1], off
	v_mov_b32_e32 v4, v9
	v_mad_u64_u32 v[4:5], s[0:1], s17, v13, v[4:5]
	v_lshlrev_b64 v[0:1], 3, v[6:7]
	v_add_u32_e32 v13, 0x88, v34
	v_mov_b32_e32 v9, v4
	v_lshlrev_b64 v[4:5], 3, v[8:9]
	v_add_u32_e32 v8, 0x77, v34
	v_mad_u64_u32 v[6:7], s[0:1], s16, v8, 0
	v_add_co_u32_e32 v0, vcc, v11, v0
	v_addc_co_u32_e32 v1, vcc, v12, v1, vcc
	global_store_dwordx2 v[0:1], v[2:3], off
	ds_read2_b64 v[0:3], v10 offset0:102 offset1:119
	v_mad_u64_u32 v[7:8], s[0:1], s17, v8, v[7:8]
	;; [unrolled: 18-line block ×6, first 2 shown]
	v_mad_u64_u32 v[8:9], s[0:1], s16, v13, 0
	v_add_co_u32_e32 v4, vcc, v11, v4
	v_addc_co_u32_e32 v5, vcc, v12, v5, vcc
	s_waitcnt lgkmcnt(0)
	global_store_dwordx2 v[4:5], v[0:1], off
	v_mov_b32_e32 v4, v9
	v_lshlrev_b64 v[0:1], 3, v[6:7]
	v_mad_u64_u32 v[4:5], s[0:1], s17, v13, v[4:5]
	v_add_co_u32_e32 v0, vcc, v11, v0
	v_addc_co_u32_e32 v1, vcc, v12, v1, vcc
	global_store_dwordx2 v[0:1], v[2:3], off
	v_mov_b32_e32 v9, v4
	ds_read_b64 v[0:1], v10 offset:2176
	v_lshlrev_b64 v[2:3], 3, v[8:9]
	v_add_co_u32_e32 v2, vcc, v11, v2
	v_addc_co_u32_e32 v3, vcc, v12, v3, vcc
	s_waitcnt lgkmcnt(0)
	global_store_dwordx2 v[2:3], v[0:1], off
.LBB0_18:
	s_endpgm
	.section	.rodata,"a",@progbits
	.p2align	6, 0x0
	.amdhsa_kernel fft_rtc_fwd_len289_factors_17_17_wgs_119_tpt_17_sp_op_CI_CI_sbcc_twdbase5_3step
		.amdhsa_group_segment_fixed_size 0
		.amdhsa_private_segment_fixed_size 0
		.amdhsa_kernarg_size 112
		.amdhsa_user_sgpr_count 6
		.amdhsa_user_sgpr_private_segment_buffer 1
		.amdhsa_user_sgpr_dispatch_ptr 0
		.amdhsa_user_sgpr_queue_ptr 0
		.amdhsa_user_sgpr_kernarg_segment_ptr 1
		.amdhsa_user_sgpr_dispatch_id 0
		.amdhsa_user_sgpr_flat_scratch_init 0
		.amdhsa_user_sgpr_private_segment_size 0
		.amdhsa_uses_dynamic_stack 0
		.amdhsa_system_sgpr_private_segment_wavefront_offset 0
		.amdhsa_system_sgpr_workgroup_id_x 1
		.amdhsa_system_sgpr_workgroup_id_y 0
		.amdhsa_system_sgpr_workgroup_id_z 0
		.amdhsa_system_sgpr_workgroup_info 0
		.amdhsa_system_vgpr_workitem_id 0
		.amdhsa_next_free_vgpr 77
		.amdhsa_next_free_sgpr 55
		.amdhsa_reserve_vcc 1
		.amdhsa_reserve_flat_scratch 0
		.amdhsa_float_round_mode_32 0
		.amdhsa_float_round_mode_16_64 0
		.amdhsa_float_denorm_mode_32 3
		.amdhsa_float_denorm_mode_16_64 3
		.amdhsa_dx10_clamp 1
		.amdhsa_ieee_mode 1
		.amdhsa_fp16_overflow 0
		.amdhsa_exception_fp_ieee_invalid_op 0
		.amdhsa_exception_fp_denorm_src 0
		.amdhsa_exception_fp_ieee_div_zero 0
		.amdhsa_exception_fp_ieee_overflow 0
		.amdhsa_exception_fp_ieee_underflow 0
		.amdhsa_exception_fp_ieee_inexact 0
		.amdhsa_exception_int_div_zero 0
	.end_amdhsa_kernel
	.text
.Lfunc_end0:
	.size	fft_rtc_fwd_len289_factors_17_17_wgs_119_tpt_17_sp_op_CI_CI_sbcc_twdbase5_3step, .Lfunc_end0-fft_rtc_fwd_len289_factors_17_17_wgs_119_tpt_17_sp_op_CI_CI_sbcc_twdbase5_3step
                                        ; -- End function
	.section	.AMDGPU.csdata,"",@progbits
; Kernel info:
; codeLenInByte = 16788
; NumSgprs: 59
; NumVgprs: 77
; ScratchSize: 0
; MemoryBound: 0
; FloatMode: 240
; IeeeMode: 1
; LDSByteSize: 0 bytes/workgroup (compile time only)
; SGPRBlocks: 7
; VGPRBlocks: 19
; NumSGPRsForWavesPerEU: 59
; NumVGPRsForWavesPerEU: 77
; Occupancy: 3
; WaveLimiterHint : 1
; COMPUTE_PGM_RSRC2:SCRATCH_EN: 0
; COMPUTE_PGM_RSRC2:USER_SGPR: 6
; COMPUTE_PGM_RSRC2:TRAP_HANDLER: 0
; COMPUTE_PGM_RSRC2:TGID_X_EN: 1
; COMPUTE_PGM_RSRC2:TGID_Y_EN: 0
; COMPUTE_PGM_RSRC2:TGID_Z_EN: 0
; COMPUTE_PGM_RSRC2:TIDIG_COMP_CNT: 0
	.type	__hip_cuid_ccb26e6d21a9d43b,@object ; @__hip_cuid_ccb26e6d21a9d43b
	.section	.bss,"aw",@nobits
	.globl	__hip_cuid_ccb26e6d21a9d43b
__hip_cuid_ccb26e6d21a9d43b:
	.byte	0                               ; 0x0
	.size	__hip_cuid_ccb26e6d21a9d43b, 1

	.ident	"AMD clang version 19.0.0git (https://github.com/RadeonOpenCompute/llvm-project roc-6.4.0 25133 c7fe45cf4b819c5991fe208aaa96edf142730f1d)"
	.section	".note.GNU-stack","",@progbits
	.addrsig
	.addrsig_sym __hip_cuid_ccb26e6d21a9d43b
	.amdgpu_metadata
---
amdhsa.kernels:
  - .args:
      - .actual_access:  read_only
        .address_space:  global
        .offset:         0
        .size:           8
        .value_kind:     global_buffer
      - .address_space:  global
        .offset:         8
        .size:           8
        .value_kind:     global_buffer
      - .offset:         16
        .size:           8
        .value_kind:     by_value
      - .actual_access:  read_only
        .address_space:  global
        .offset:         24
        .size:           8
        .value_kind:     global_buffer
      - .actual_access:  read_only
        .address_space:  global
        .offset:         32
        .size:           8
        .value_kind:     global_buffer
      - .actual_access:  read_only
        .address_space:  global
        .offset:         40
        .size:           8
        .value_kind:     global_buffer
      - .offset:         48
        .size:           8
        .value_kind:     by_value
      - .actual_access:  read_only
        .address_space:  global
        .offset:         56
        .size:           8
        .value_kind:     global_buffer
      - .actual_access:  read_only
        .address_space:  global
        .offset:         64
        .size:           8
        .value_kind:     global_buffer
      - .offset:         72
        .size:           4
        .value_kind:     by_value
      - .actual_access:  read_only
        .address_space:  global
        .offset:         80
        .size:           8
        .value_kind:     global_buffer
      - .actual_access:  read_only
        .address_space:  global
        .offset:         88
        .size:           8
        .value_kind:     global_buffer
      - .actual_access:  read_only
        .address_space:  global
        .offset:         96
        .size:           8
        .value_kind:     global_buffer
      - .actual_access:  write_only
        .address_space:  global
        .offset:         104
        .size:           8
        .value_kind:     global_buffer
    .group_segment_fixed_size: 0
    .kernarg_segment_align: 8
    .kernarg_segment_size: 112
    .language:       OpenCL C
    .language_version:
      - 2
      - 0
    .max_flat_workgroup_size: 119
    .name:           fft_rtc_fwd_len289_factors_17_17_wgs_119_tpt_17_sp_op_CI_CI_sbcc_twdbase5_3step
    .private_segment_fixed_size: 0
    .sgpr_count:     59
    .sgpr_spill_count: 0
    .symbol:         fft_rtc_fwd_len289_factors_17_17_wgs_119_tpt_17_sp_op_CI_CI_sbcc_twdbase5_3step.kd
    .uniform_work_group_size: 1
    .uses_dynamic_stack: false
    .vgpr_count:     77
    .vgpr_spill_count: 0
    .wavefront_size: 64
amdhsa.target:   amdgcn-amd-amdhsa--gfx906
amdhsa.version:
  - 1
  - 2
...

	.end_amdgpu_metadata
